;; amdgpu-corpus repo=ROCm/rocFFT kind=compiled arch=gfx1030 opt=O3
	.text
	.amdgcn_target "amdgcn-amd-amdhsa--gfx1030"
	.amdhsa_code_object_version 6
	.protected	fft_rtc_back_len1156_factors_17_2_17_2_wgs_204_tpt_68_halfLds_half_op_CI_CI_unitstride_sbrr_dirReg ; -- Begin function fft_rtc_back_len1156_factors_17_2_17_2_wgs_204_tpt_68_halfLds_half_op_CI_CI_unitstride_sbrr_dirReg
	.globl	fft_rtc_back_len1156_factors_17_2_17_2_wgs_204_tpt_68_halfLds_half_op_CI_CI_unitstride_sbrr_dirReg
	.p2align	8
	.type	fft_rtc_back_len1156_factors_17_2_17_2_wgs_204_tpt_68_halfLds_half_op_CI_CI_unitstride_sbrr_dirReg,@function
fft_rtc_back_len1156_factors_17_2_17_2_wgs_204_tpt_68_halfLds_half_op_CI_CI_unitstride_sbrr_dirReg: ; @fft_rtc_back_len1156_factors_17_2_17_2_wgs_204_tpt_68_halfLds_half_op_CI_CI_unitstride_sbrr_dirReg
; %bb.0:
	s_load_dwordx4 s[8:11], s[4:5], 0x0
	v_mul_u32_u24_e32 v1, 0x3c4, v0
	s_clause 0x1
	s_load_dwordx4 s[12:15], s[4:5], 0x58
	s_load_dwordx4 s[16:19], s[4:5], 0x18
	v_mov_b32_e32 v5, 0
	v_mov_b32_e32 v3, 0
	;; [unrolled: 1-line block ×3, first 2 shown]
	v_lshrrev_b32_e32 v1, 16, v1
	v_mov_b32_e32 v19, v4
	v_mad_u64_u32 v[1:2], null, s6, 3, v[1:2]
	v_mov_b32_e32 v2, v5
	v_mov_b32_e32 v18, v3
	;; [unrolled: 1-line block ×4, first 2 shown]
	s_waitcnt lgkmcnt(0)
	v_cmp_lt_u64_e64 s0, s[10:11], 2
	s_and_b32 vcc_lo, exec_lo, s0
	s_cbranch_vccnz .LBB0_8
; %bb.1:
	s_load_dwordx2 s[0:1], s[4:5], 0x10
	v_mov_b32_e32 v3, 0
	v_mov_b32_e32 v4, 0
	s_add_u32 s2, s18, 8
	v_mov_b32_e32 v8, v2
	s_addc_u32 s3, s19, 0
	v_mov_b32_e32 v7, v1
	v_mov_b32_e32 v19, v4
	s_add_u32 s6, s16, 8
	v_mov_b32_e32 v18, v3
	s_addc_u32 s7, s17, 0
	s_mov_b64 s[22:23], 1
	s_waitcnt lgkmcnt(0)
	s_add_u32 s20, s0, 8
	s_addc_u32 s21, s1, 0
.LBB0_2:                                ; =>This Inner Loop Header: Depth=1
	s_load_dwordx2 s[24:25], s[20:21], 0x0
                                        ; implicit-def: $vgpr20_vgpr21
	s_mov_b32 s0, exec_lo
	s_waitcnt lgkmcnt(0)
	v_or_b32_e32 v6, s25, v8
	v_cmpx_ne_u64_e32 0, v[5:6]
	s_xor_b32 s1, exec_lo, s0
	s_cbranch_execz .LBB0_4
; %bb.3:                                ;   in Loop: Header=BB0_2 Depth=1
	v_cvt_f32_u32_e32 v2, s24
	v_cvt_f32_u32_e32 v6, s25
	s_sub_u32 s0, 0, s24
	s_subb_u32 s26, 0, s25
	v_fmac_f32_e32 v2, 0x4f800000, v6
	v_rcp_f32_e32 v2, v2
	v_mul_f32_e32 v2, 0x5f7ffffc, v2
	v_mul_f32_e32 v6, 0x2f800000, v2
	v_trunc_f32_e32 v6, v6
	v_fmac_f32_e32 v2, 0xcf800000, v6
	v_cvt_u32_f32_e32 v6, v6
	v_cvt_u32_f32_e32 v2, v2
	v_mul_lo_u32 v9, s0, v6
	v_mul_hi_u32 v10, s0, v2
	v_mul_lo_u32 v11, s26, v2
	v_add_nc_u32_e32 v9, v10, v9
	v_mul_lo_u32 v10, s0, v2
	v_add_nc_u32_e32 v9, v9, v11
	v_mul_hi_u32 v11, v2, v10
	v_mul_lo_u32 v12, v2, v9
	v_mul_hi_u32 v13, v2, v9
	v_mul_hi_u32 v14, v6, v10
	v_mul_lo_u32 v10, v6, v10
	v_mul_hi_u32 v15, v6, v9
	v_mul_lo_u32 v9, v6, v9
	v_add_co_u32 v11, vcc_lo, v11, v12
	v_add_co_ci_u32_e32 v12, vcc_lo, 0, v13, vcc_lo
	v_add_co_u32 v10, vcc_lo, v11, v10
	v_add_co_ci_u32_e32 v10, vcc_lo, v12, v14, vcc_lo
	v_add_co_ci_u32_e32 v11, vcc_lo, 0, v15, vcc_lo
	v_add_co_u32 v9, vcc_lo, v10, v9
	v_add_co_ci_u32_e32 v10, vcc_lo, 0, v11, vcc_lo
	v_add_co_u32 v2, vcc_lo, v2, v9
	v_add_co_ci_u32_e32 v6, vcc_lo, v6, v10, vcc_lo
	v_mul_hi_u32 v9, s0, v2
	v_mul_lo_u32 v11, s26, v2
	v_mul_lo_u32 v10, s0, v6
	v_add_nc_u32_e32 v9, v9, v10
	v_mul_lo_u32 v10, s0, v2
	v_add_nc_u32_e32 v9, v9, v11
	v_mul_hi_u32 v11, v2, v10
	v_mul_lo_u32 v12, v2, v9
	v_mul_hi_u32 v13, v2, v9
	v_mul_hi_u32 v14, v6, v10
	v_mul_lo_u32 v10, v6, v10
	v_mul_hi_u32 v15, v6, v9
	v_mul_lo_u32 v9, v6, v9
	v_add_co_u32 v11, vcc_lo, v11, v12
	v_add_co_ci_u32_e32 v12, vcc_lo, 0, v13, vcc_lo
	v_add_co_u32 v10, vcc_lo, v11, v10
	v_add_co_ci_u32_e32 v10, vcc_lo, v12, v14, vcc_lo
	v_add_co_ci_u32_e32 v11, vcc_lo, 0, v15, vcc_lo
	v_add_co_u32 v9, vcc_lo, v10, v9
	v_add_co_ci_u32_e32 v10, vcc_lo, 0, v11, vcc_lo
	v_add_co_u32 v2, vcc_lo, v2, v9
	v_add_co_ci_u32_e32 v6, vcc_lo, v6, v10, vcc_lo
	v_mul_hi_u32 v15, v7, v2
	v_mad_u64_u32 v[11:12], null, v8, v2, 0
	v_mad_u64_u32 v[9:10], null, v7, v6, 0
	;; [unrolled: 1-line block ×3, first 2 shown]
	v_add_co_u32 v2, vcc_lo, v15, v9
	v_add_co_ci_u32_e32 v6, vcc_lo, 0, v10, vcc_lo
	v_add_co_u32 v2, vcc_lo, v2, v11
	v_add_co_ci_u32_e32 v2, vcc_lo, v6, v12, vcc_lo
	v_add_co_ci_u32_e32 v6, vcc_lo, 0, v14, vcc_lo
	v_add_co_u32 v2, vcc_lo, v2, v13
	v_add_co_ci_u32_e32 v6, vcc_lo, 0, v6, vcc_lo
	v_mul_lo_u32 v11, s25, v2
	v_mad_u64_u32 v[9:10], null, s24, v2, 0
	v_mul_lo_u32 v12, s24, v6
	v_sub_co_u32 v9, vcc_lo, v7, v9
	v_add3_u32 v10, v10, v12, v11
	v_sub_nc_u32_e32 v11, v8, v10
	v_subrev_co_ci_u32_e64 v11, s0, s25, v11, vcc_lo
	v_add_co_u32 v12, s0, v2, 2
	v_add_co_ci_u32_e64 v13, s0, 0, v6, s0
	v_sub_co_u32 v14, s0, v9, s24
	v_sub_co_ci_u32_e32 v10, vcc_lo, v8, v10, vcc_lo
	v_subrev_co_ci_u32_e64 v11, s0, 0, v11, s0
	v_cmp_le_u32_e32 vcc_lo, s24, v14
	v_cmp_eq_u32_e64 s0, s25, v10
	v_cndmask_b32_e64 v14, 0, -1, vcc_lo
	v_cmp_le_u32_e32 vcc_lo, s25, v11
	v_cndmask_b32_e64 v15, 0, -1, vcc_lo
	v_cmp_le_u32_e32 vcc_lo, s24, v9
	;; [unrolled: 2-line block ×3, first 2 shown]
	v_cndmask_b32_e64 v16, 0, -1, vcc_lo
	v_cmp_eq_u32_e32 vcc_lo, s25, v11
	v_cndmask_b32_e64 v9, v16, v9, s0
	v_cndmask_b32_e32 v11, v15, v14, vcc_lo
	v_add_co_u32 v14, vcc_lo, v2, 1
	v_add_co_ci_u32_e32 v15, vcc_lo, 0, v6, vcc_lo
	v_cmp_ne_u32_e32 vcc_lo, 0, v11
	v_cndmask_b32_e32 v10, v15, v13, vcc_lo
	v_cndmask_b32_e32 v11, v14, v12, vcc_lo
	v_cmp_ne_u32_e32 vcc_lo, 0, v9
	v_cndmask_b32_e32 v21, v6, v10, vcc_lo
	v_cndmask_b32_e32 v20, v2, v11, vcc_lo
.LBB0_4:                                ;   in Loop: Header=BB0_2 Depth=1
	s_andn2_saveexec_b32 s0, s1
	s_cbranch_execz .LBB0_6
; %bb.5:                                ;   in Loop: Header=BB0_2 Depth=1
	v_cvt_f32_u32_e32 v2, s24
	s_sub_i32 s1, 0, s24
	v_mov_b32_e32 v21, v5
	v_rcp_iflag_f32_e32 v2, v2
	v_mul_f32_e32 v2, 0x4f7ffffe, v2
	v_cvt_u32_f32_e32 v2, v2
	v_mul_lo_u32 v6, s1, v2
	v_mul_hi_u32 v6, v2, v6
	v_add_nc_u32_e32 v2, v2, v6
	v_mul_hi_u32 v2, v7, v2
	v_mul_lo_u32 v6, v2, s24
	v_add_nc_u32_e32 v9, 1, v2
	v_sub_nc_u32_e32 v6, v7, v6
	v_subrev_nc_u32_e32 v10, s24, v6
	v_cmp_le_u32_e32 vcc_lo, s24, v6
	v_cndmask_b32_e32 v6, v6, v10, vcc_lo
	v_cndmask_b32_e32 v2, v2, v9, vcc_lo
	v_cmp_le_u32_e32 vcc_lo, s24, v6
	v_add_nc_u32_e32 v9, 1, v2
	v_cndmask_b32_e32 v20, v2, v9, vcc_lo
.LBB0_6:                                ;   in Loop: Header=BB0_2 Depth=1
	s_or_b32 exec_lo, exec_lo, s0
	v_mul_lo_u32 v2, v21, s24
	v_mul_lo_u32 v6, v20, s25
	s_load_dwordx2 s[0:1], s[6:7], 0x0
	v_mad_u64_u32 v[9:10], null, v20, s24, 0
	s_load_dwordx2 s[24:25], s[2:3], 0x0
	s_add_u32 s22, s22, 1
	s_addc_u32 s23, s23, 0
	s_add_u32 s2, s2, 8
	s_addc_u32 s3, s3, 0
	s_add_u32 s6, s6, 8
	v_add3_u32 v2, v10, v6, v2
	v_sub_co_u32 v6, vcc_lo, v7, v9
	s_addc_u32 s7, s7, 0
	s_add_u32 s20, s20, 8
	v_sub_co_ci_u32_e32 v2, vcc_lo, v8, v2, vcc_lo
	s_addc_u32 s21, s21, 0
	s_waitcnt lgkmcnt(0)
	v_mul_lo_u32 v7, s0, v2
	v_mul_lo_u32 v8, s1, v6
	v_mad_u64_u32 v[3:4], null, s0, v6, v[3:4]
	v_mul_lo_u32 v2, s24, v2
	v_mul_lo_u32 v9, s25, v6
	v_mad_u64_u32 v[18:19], null, s24, v6, v[18:19]
	v_cmp_ge_u64_e64 s0, s[22:23], s[10:11]
	v_add3_u32 v4, v8, v4, v7
	v_add3_u32 v19, v9, v19, v2
	s_and_b32 vcc_lo, exec_lo, s0
	s_cbranch_vccnz .LBB0_8
; %bb.7:                                ;   in Loop: Header=BB0_2 Depth=1
	v_mov_b32_e32 v7, v20
	v_mov_b32_e32 v8, v21
	s_branch .LBB0_2
.LBB0_8:
	s_load_dwordx2 s[0:1], s[4:5], 0x28
	v_mul_hi_u32 v5, 0x3c3c3c4, v0
	s_lshl_b64 s[4:5], s[10:11], 3
                                        ; implicit-def: $sgpr6
                                        ; implicit-def: $vgpr16
	s_add_u32 s2, s18, s4
	s_addc_u32 s3, s19, s5
	s_waitcnt lgkmcnt(0)
	v_cmp_gt_u64_e32 vcc_lo, s[0:1], v[20:21]
	v_cmp_le_u64_e64 s0, s[0:1], v[20:21]
	s_and_saveexec_b32 s1, s0
	s_xor_b32 s0, exec_lo, s1
; %bb.9:
	v_mul_u32_u24_e32 v2, 0x44, v5
	s_mov_b32 s6, 0
                                        ; implicit-def: $vgpr5
                                        ; implicit-def: $vgpr3_vgpr4
	v_sub_nc_u32_e32 v16, v0, v2
                                        ; implicit-def: $vgpr0
; %bb.10:
	s_or_saveexec_b32 s1, s0
	v_mov_b32_e32 v2, s6
                                        ; implicit-def: $vgpr54
                                        ; implicit-def: $vgpr13
                                        ; implicit-def: $vgpr52
                                        ; implicit-def: $vgpr25
                                        ; implicit-def: $vgpr51
                                        ; implicit-def: $vgpr27
                                        ; implicit-def: $vgpr50
                                        ; implicit-def: $vgpr29
                                        ; implicit-def: $vgpr48
                                        ; implicit-def: $vgpr33
                                        ; implicit-def: $vgpr45
                                        ; implicit-def: $vgpr36
                                        ; implicit-def: $vgpr44
                                        ; implicit-def: $vgpr38
                                        ; implicit-def: $vgpr42
                                        ; implicit-def: $vgpr46
                                        ; implicit-def: $vgpr41
                                        ; implicit-def: $vgpr47
                                        ; implicit-def: $vgpr40
                                        ; implicit-def: $vgpr49
                                        ; implicit-def: $vgpr39
                                        ; implicit-def: $vgpr53
                                        ; implicit-def: $vgpr37
                                        ; implicit-def: $vgpr55
                                        ; implicit-def: $vgpr35
                                        ; implicit-def: $vgpr56
                                        ; implicit-def: $vgpr34
                                        ; implicit-def: $vgpr57
                                        ; implicit-def: $vgpr32
                                        ; implicit-def: $vgpr58
                                        ; implicit-def: $vgpr31
                                        ; implicit-def: $vgpr59
                                        ; implicit-def: $vgpr24
	s_xor_b32 exec_lo, exec_lo, s1
	s_cbranch_execz .LBB0_12
; %bb.11:
	s_add_u32 s4, s16, s4
	s_addc_u32 s5, s17, s5
	s_load_dwordx2 s[4:5], s[4:5], 0x0
	s_waitcnt lgkmcnt(0)
	v_mul_lo_u32 v2, s5, v20
	v_mul_lo_u32 v8, s4, v21
	v_mad_u64_u32 v[6:7], null, s4, v20, 0
	v_add3_u32 v7, v7, v8, v2
	v_mul_u32_u24_e32 v8, 0x44, v5
	v_lshlrev_b64 v[2:3], 2, v[3:4]
	v_lshlrev_b64 v[5:6], 2, v[6:7]
	v_sub_nc_u32_e32 v16, v0, v8
	v_mov_b32_e32 v24, v16
	v_add_co_u32 v0, s0, s12, v5
	v_add_co_ci_u32_e64 v4, s0, s13, v6, s0
	v_lshlrev_b32_e32 v5, 2, v16
	v_add_co_u32 v0, s0, v0, v2
	v_add_co_ci_u32_e64 v3, s0, v4, v3, s0
	v_add_co_u32 v2, s0, v0, v5
	v_add_co_ci_u32_e64 v3, s0, 0, v3, s0
	s_clause 0x6
	global_load_dword v13, v[2:3], off offset:272
	global_load_dword v25, v[2:3], off offset:544
	;; [unrolled: 1-line block ×7, first 2 shown]
	v_add_co_u32 v4, s0, 0x800, v2
	v_add_co_ci_u32_e64 v5, s0, 0, v3, s0
	v_add_co_u32 v6, s0, 0x1000, v2
	v_add_co_ci_u32_e64 v7, s0, 0, v3, s0
	s_clause 0x9
	global_load_dword v46, v[4:5], off offset:128
	global_load_dword v47, v[4:5], off offset:400
	;; [unrolled: 1-line block ×9, first 2 shown]
	global_load_dword v2, v[2:3], off
	s_waitcnt vmcnt(16)
	v_lshrrev_b32_e32 v54, 16, v13
	s_waitcnt vmcnt(15)
	v_lshrrev_b32_e32 v52, 16, v25
	s_waitcnt vmcnt(14)
	v_lshrrev_b32_e32 v51, 16, v27
	s_waitcnt vmcnt(13)
	v_lshrrev_b32_e32 v50, 16, v29
	s_waitcnt vmcnt(12)
	v_lshrrev_b32_e32 v48, 16, v33
	s_waitcnt vmcnt(11)
	v_lshrrev_b32_e32 v45, 16, v36
	s_waitcnt vmcnt(10)
	v_lshrrev_b32_e32 v44, 16, v38
	s_waitcnt vmcnt(9)
	v_lshrrev_b32_e32 v42, 16, v46
	s_waitcnt vmcnt(8)
	v_lshrrev_b32_e32 v41, 16, v47
	s_waitcnt vmcnt(7)
	v_lshrrev_b32_e32 v40, 16, v49
	s_waitcnt vmcnt(6)
	v_lshrrev_b32_e32 v39, 16, v53
	s_waitcnt vmcnt(5)
	v_lshrrev_b32_e32 v37, 16, v55
	s_waitcnt vmcnt(4)
	v_lshrrev_b32_e32 v35, 16, v56
	s_waitcnt vmcnt(3)
	v_lshrrev_b32_e32 v34, 16, v57
	s_waitcnt vmcnt(2)
	v_lshrrev_b32_e32 v32, 16, v58
	s_waitcnt vmcnt(1)
	v_lshrrev_b32_e32 v31, 16, v59
.LBB0_12:
	s_or_b32 exec_lo, exec_lo, s1
	v_sub_f16_e32 v0, v54, v31
	v_add_f16_e32 v6, v13, v59
	v_sub_f16_e32 v4, v52, v32
	v_add_f16_e32 v7, v25, v58
	v_sub_f16_e32 v5, v51, v34
	v_pk_mul_f16 v8, 0xb964b5c8, v0 op_sel_hi:[1,0]
	v_add_f16_e32 v9, v27, v57
	v_pk_mul_f16 v11, 0xbbf7b964, v4 op_sel_hi:[1,0]
	v_sub_f16_e32 v14, v50, v35
	v_pk_mul_f16 v17, 0xba62bb29, v5 op_sel_hi:[1,0]
	v_pk_fma_f16 v12, 0x39e93b76, v6, v8 op_sel_hi:[1,0,1]
	v_mul_hi_u32 v3, 0xaaaaaaab, v1
	v_pk_fma_f16 v22, 0x2de839e9, v7, v11 op_sel_hi:[1,0,1]
	v_add_f16_e32 v10, v29, v56
	v_sub_f16_e32 v23, v48, v37
	s_waitcnt vmcnt(0)
	v_pk_add_f16 v12, v12, v2 op_sel_hi:[1,0]
	v_pk_mul_f16 v28, 0xb1e1bbf7, v14 op_sel_hi:[1,0]
	v_pk_fma_f16 v30, 0xb8d23722, v9, v17 op_sel_hi:[1,0,1]
	v_pk_mul_f16 v43, 0xbbf7bb29, v0 op_sel_hi:[1,0]
	v_add_f16_e32 v15, v33, v55
	v_pk_add_f16 v12, v22, v12
	v_lshrrev_b32_e32 v3, 1, v3
	v_pk_fma_f16 v60, 0xbbdd2de8, v10, v28 op_sel_hi:[1,0,1]
	v_pk_mul_f16 v61, 0xb1e1ba62, v4 op_sel_hi:[1,0]
	v_pk_fma_f16 v62, 0x2de83722, v6, v43 op_sel_hi:[1,0,1]
	v_pk_add_f16 v12, v30, v12
	v_pk_mul_f16 v30, 0x3836bbb2, v23 op_sel_hi:[1,0]
	v_sub_f16_e32 v22, v45, v39
	v_lshl_add_u32 v3, v3, 1, v3
	v_pk_add_f16 v62, v62, v2 op_sel_hi:[1,0]
	v_pk_add_f16 v12, v60, v12
	v_pk_fma_f16 v60, 0xbacdb461, v15, v30 op_sel_hi:[1,0,1]
	v_pk_fma_f16 v64, 0xbbddb8d2, v7, v61 op_sel_hi:[1,0,1]
	v_pk_mul_f16 v65, 0x3bb231e1, v5 op_sel_hi:[1,0]
	v_pk_mul_f16 v67, 0xba62bbb2, v0 op_sel_hi:[1,0]
	v_add_f16_e32 v26, v36, v53
	v_pk_mul_f16 v63, 0x3bb2ba62, v22 op_sel_hi:[1,0]
	v_sub_nc_u32_e32 v1, v1, v3
	v_pk_add_f16 v3, v60, v12
	v_pk_add_f16 v60, v64, v62
	v_pk_fma_f16 v64, 0xb461bbdd, v9, v65 op_sel_hi:[1,0,1]
	v_pk_mul_f16 v66, 0x35c83bb2, v14 op_sel_hi:[1,0]
	v_pk_fma_f16 v70, 0xb8d2b461, v6, v67 op_sel_hi:[1,0,1]
	v_pk_mul_f16 v71, 0x3bb23836, v4 op_sel_hi:[1,0]
	v_pk_fma_f16 v12, 0xb461b8d2, v26, v63 op_sel_hi:[1,0,1]
	v_sub_f16_e32 v62, v44, v40
	v_pk_add_f16 v60, v64, v60
	v_pk_fma_f16 v64, 0x3b76b461, v10, v66 op_sel_hi:[1,0,1]
	v_pk_mul_f16 v68, 0xbb293964, v23 op_sel_hi:[1,0]
	v_pk_add_f16 v70, v70, v2 op_sel_hi:[1,0]
	v_pk_fma_f16 v73, 0xb461bacd, v7, v71 op_sel_hi:[1,0,1]
	v_pk_mul_f16 v74, 0xb5c83964, v5 op_sel_hi:[1,0]
	v_pk_add_f16 v3, v12, v3
	v_add_f16_e32 v12, v38, v49
	v_pk_mul_f16 v69, 0x3b29b836, v62 op_sel_hi:[1,0]
	v_pk_add_f16 v60, v64, v60
	v_pk_fma_f16 v64, 0x372239e9, v15, v68 op_sel_hi:[1,0,1]
	v_pk_mul_f16 v72, 0xb836b5c8, v22 op_sel_hi:[1,0]
	v_pk_add_f16 v70, v73, v70
	v_pk_fma_f16 v73, 0x3b7639e9, v9, v74 op_sel_hi:[1,0,1]
	;; [unrolled: 3-line block ×3, first 2 shown]
	v_pk_mul_f16 v75, 0x3a62bbf7, v62 op_sel_hi:[1,0]
	v_pk_fma_f16 v77, 0x3722bacd, v12, v69 op_sel_hi:[1,0,1]
	v_pk_add_f16 v70, v73, v70
	v_pk_fma_f16 v73, 0xbacd3722, v10, v76 op_sel_hi:[1,0,1]
	v_pk_mul_f16 v78, 0x3bf7b1e1, v23 op_sel_hi:[1,0]
	v_pk_add_f16 v60, v64, v60
	v_pk_fma_f16 v64, 0xb8d22de8, v12, v75 op_sel_hi:[1,0,1]
	v_pk_add_f16 v3, v77, v3
	v_pk_add_f16 v70, v73, v70
	v_pk_fma_f16 v73, 0x2de8bbdd, v15, v78 op_sel_hi:[1,0,1]
	v_pk_mul_f16 v77, 0xb9643bf7, v22 op_sel_hi:[1,0]
	v_pk_add_f16 v60, v64, v60
	v_sub_f16_e32 v64, v42, v41
	v_pk_mul_f16 v82, 0xb1e1b5c8, v62 op_sel_hi:[1,0]
	v_pk_add_f16 v70, v73, v70
	v_pk_fma_f16 v73, 0x39e92de8, v26, v77 op_sel_hi:[1,0,1]
	v_add_f16_e32 v79, v46, v47
	v_pk_mul_f16 v80, 0x35c8b1e1, v64 op_sel_hi:[1,0]
	v_pk_mul_f16 v81, 0x3964b836, v64 op_sel_hi:[1,0]
	;; [unrolled: 1-line block ×3, first 2 shown]
	v_pk_add_f16 v70, v73, v70
	v_pk_fma_f16 v73, 0xbbdd3b76, v12, v82 op_sel_hi:[1,0,1]
	v_pk_mul_f16 v85, 0x3b29ba62, v64 op_sel_hi:[1,0]
	v_pk_fma_f16 v83, 0x3b76bbdd, v79, v80 op_sel_hi:[1,0,1]
	v_pk_fma_f16 v84, 0x39e9bacd, v79, v81 op_sel_hi:[1,0,1]
	;; [unrolled: 1-line block ×3, first 2 shown]
	v_pk_mul_f16 v87, 0x35c83b29, v4 op_sel_hi:[1,0]
	v_pk_add_f16 v70, v73, v70
	v_pk_fma_f16 v73, 0x3722b8d2, v79, v85 op_sel_hi:[1,0,1]
	v_pk_add_f16 v3, v83, v3
	v_pk_add_f16 v83, v86, v2 op_sel_hi:[1,0]
	v_pk_fma_f16 v86, 0x3b763722, v7, v87 op_sel_hi:[1,0,1]
	v_pk_add_f16 v4, v84, v60
	v_pk_mul_f16 v60, 0xb836bbf7, v5 op_sel_hi:[1,0]
	v_pk_add_f16 v5, v73, v70
	v_add_f16_e32 v73, v13, v2
	v_pk_fma_f16 v0, 0xbbddbacd, v6, v0 op_sel_hi:[1,0,1] neg_lo:[0,0,1] neg_hi:[0,0,1]
	v_pk_add_f16 v70, v86, v83
	v_pk_fma_f16 v83, 0xbacd2de8, v9, v60 op_sel_hi:[1,0,1]
	v_pk_mul_f16 v14, 0x39643a62, v14 op_sel_hi:[1,0]
	v_add_f16_e32 v73, v25, v73
	v_pk_add_f16 v0, v0, v2 op_sel_hi:[1,0]
	v_pk_fma_f16 v84, 0x3b763722, v7, v87 op_sel_hi:[1,0,1] neg_lo:[0,0,1] neg_hi:[0,0,1]
	v_pk_add_f16 v70, v83, v70
	v_pk_fma_f16 v83, 0x39e9b8d2, v10, v14 op_sel_hi:[1,0,1]
	v_pk_mul_f16 v23, 0xba62b5c8, v23 op_sel_hi:[1,0]
	v_add_f16_e32 v73, v27, v73
	v_pk_add_f16 v0, v84, v0
	v_pk_fma_f16 v60, 0xbacd2de8, v9, v60 op_sel_hi:[1,0,1] neg_lo:[0,0,1] neg_hi:[0,0,1]
	v_pk_add_f16 v70, v83, v70
	v_pk_fma_f16 v83, 0xb8d23b76, v15, v23 op_sel_hi:[1,0,1]
	v_pk_mul_f16 v22, 0x3b29b1e1, v22 op_sel_hi:[1,0]
	v_add_f16_e32 v73, v29, v73
	v_pk_add_f16 v0, v60, v0
	v_pk_fma_f16 v14, 0x39e9b8d2, v10, v14 op_sel_hi:[1,0,1] neg_lo:[0,0,1] neg_hi:[0,0,1]
	v_pk_add_f16 v60, v83, v70
	v_pk_fma_f16 v70, 0x3722bbdd, v26, v22 op_sel_hi:[1,0,1]
	v_add_f16_e32 v73, v33, v73
	v_pk_mul_f16 v62, 0xbbb23964, v62 op_sel_hi:[1,0]
	v_pk_add_f16 v0, v14, v0
	v_pk_fma_f16 v14, 0xb8d23b76, v15, v23 op_sel_hi:[1,0,1] neg_lo:[0,0,1] neg_hi:[0,0,1]
	v_pk_add_f16 v23, v70, v60
	v_add_f16_e32 v60, v36, v73
	v_pk_fma_f16 v67, 0xb8d2b461, v6, v67 op_sel_hi:[1,0,1] neg_lo:[0,0,1] neg_hi:[0,0,1]
	v_pk_fma_f16 v43, 0x2de83722, v6, v43 op_sel_hi:[1,0,1] neg_lo:[0,0,1] neg_hi:[0,0,1]
	v_pk_add_f16 v0, v14, v0
	v_pk_fma_f16 v14, 0x3722bbdd, v26, v22 op_sel_hi:[1,0,1] neg_lo:[0,0,1] neg_hi:[0,0,1]
	v_add_f16_e32 v22, v38, v60
	v_pk_add_f16 v60, v67, v2 op_sel_hi:[1,0]
	v_pk_fma_f16 v67, 0xb461bacd, v7, v71 op_sel_hi:[1,0,1] neg_lo:[0,0,1] neg_hi:[0,0,1]
	v_pk_fma_f16 v6, 0x39e93b76, v6, v8 op_sel_hi:[1,0,1] neg_lo:[0,0,1] neg_hi:[0,0,1]
	v_pk_add_f16 v0, v14, v0
	v_add_f16_e32 v14, v46, v22
	v_pk_fma_f16 v22, 0xb46139e9, v12, v62 op_sel_hi:[1,0,1] neg_lo:[0,0,1] neg_hi:[0,0,1]
	v_pk_fma_f16 v70, 0xb46139e9, v12, v62 op_sel_hi:[1,0,1]
	v_pk_add_f16 v60, v67, v60
	v_pk_fma_f16 v62, 0x3b7639e9, v9, v74 op_sel_hi:[1,0,1] neg_lo:[0,0,1] neg_hi:[0,0,1]
	v_add_f16_e32 v14, v47, v14
	v_pk_add_f16 v0, v22, v0
	v_pk_add_f16 v22, v43, v2 op_sel_hi:[1,0]
	v_pk_fma_f16 v43, 0xbbddb8d2, v7, v61 op_sel_hi:[1,0,1] neg_lo:[0,0,1] neg_hi:[0,0,1]
	v_pk_fma_f16 v7, 0x2de839e9, v7, v11 op_sel_hi:[1,0,1] neg_lo:[0,0,1] neg_hi:[0,0,1]
	v_add_f16_e32 v14, v49, v14
	v_pk_add_f16 v6, v6, v2 op_sel_hi:[1,0]
	v_pk_add_f16 v60, v62, v60
	v_pk_add_f16 v8, v43, v22
	v_pk_fma_f16 v22, 0xb461bbdd, v9, v65 op_sel_hi:[1,0,1] neg_lo:[0,0,1] neg_hi:[0,0,1]
	v_add_f16_e32 v14, v53, v14
	v_pk_fma_f16 v61, 0xbacd3722, v10, v76 op_sel_hi:[1,0,1] neg_lo:[0,0,1] neg_hi:[0,0,1]
	v_pk_add_f16 v6, v7, v6
	v_pk_fma_f16 v7, 0x3b76b461, v10, v66 op_sel_hi:[1,0,1] neg_lo:[0,0,1] neg_hi:[0,0,1]
	v_pk_add_f16 v8, v22, v8
	v_add_f16_e32 v14, v55, v14
	v_pk_fma_f16 v9, 0xb8d23722, v9, v17 op_sel_hi:[1,0,1] neg_lo:[0,0,1] neg_hi:[0,0,1]
	v_pk_add_f16 v11, v61, v60
	v_pk_fma_f16 v43, 0x2de8bbdd, v15, v78 op_sel_hi:[1,0,1] neg_lo:[0,0,1] neg_hi:[0,0,1]
	v_pk_add_f16 v7, v7, v8
	v_add_f16_e32 v14, v56, v14
	v_pk_add_f16 v6, v9, v6
	v_pk_fma_f16 v10, 0xbbdd2de8, v10, v28 op_sel_hi:[1,0,1] neg_lo:[0,0,1] neg_hi:[0,0,1]
	v_pk_add_f16 v11, v43, v11
	v_pk_fma_f16 v17, 0x39e92de8, v26, v77 op_sel_hi:[1,0,1] neg_lo:[0,0,1] neg_hi:[0,0,1]
	v_add_f16_e32 v8, v57, v14
	v_pk_fma_f16 v9, 0x372239e9, v15, v68 op_sel_hi:[1,0,1] neg_lo:[0,0,1] neg_hi:[0,0,1]
	v_mul_u32_u24_e32 v43, 0x484, v1
	v_pk_add_f16 v6, v10, v6
	v_pk_add_f16 v11, v17, v11
	v_add_f16_e32 v1, v58, v8
	v_pk_fma_f16 v8, 0xbacdb461, v15, v30 op_sel_hi:[1,0,1] neg_lo:[0,0,1] neg_hi:[0,0,1]
	v_pk_add_f16 v7, v9, v7
	v_pk_fma_f16 v10, 0xbacd3b76, v26, v72 op_sel_hi:[1,0,1] neg_lo:[0,0,1] neg_hi:[0,0,1]
	v_pk_fma_f16 v17, 0xbbdd3b76, v12, v82 op_sel_hi:[1,0,1] neg_lo:[0,0,1] neg_hi:[0,0,1]
	v_pk_mul_f16 v9, 0x3bf7bbb2, v64 op_sel_hi:[1,0]
	v_pk_add_f16 v6, v8, v6
	v_pk_fma_f16 v8, 0xb461b8d2, v26, v63 op_sel_hi:[1,0,1] neg_lo:[0,0,1] neg_hi:[0,0,1]
	v_pk_add_f16 v7, v10, v7
	v_pk_fma_f16 v10, 0xb8d22de8, v12, v75 op_sel_hi:[1,0,1] neg_lo:[0,0,1] neg_hi:[0,0,1]
	v_pk_add_f16 v11, v17, v11
	v_lshl_add_u32 v14, v43, 1, 0
	v_pk_add_f16 v6, v8, v6
	v_pk_fma_f16 v8, 0x3722bacd, v12, v69 op_sel_hi:[1,0,1] neg_lo:[0,0,1] neg_hi:[0,0,1]
	v_pk_fma_f16 v12, 0x3722b8d2, v79, v85 op_sel_hi:[1,0,1] neg_lo:[0,0,1] neg_hi:[0,0,1]
	;; [unrolled: 1-line block ×3, first 2 shown]
	v_pk_add_f16 v7, v10, v7
	v_pk_fma_f16 v10, 0x39e9bacd, v79, v81 op_sel_hi:[1,0,1] neg_lo:[0,0,1] neg_hi:[0,0,1]
	v_pk_add_f16 v6, v8, v6
	v_pk_fma_f16 v8, 0x3b76bbdd, v79, v80 op_sel_hi:[1,0,1] neg_lo:[0,0,1] neg_hi:[0,0,1]
	v_pk_add_f16 v11, v12, v11
	v_pk_add_f16 v23, v70, v23
	v_pk_fma_f16 v9, 0x2de8b461, v79, v9 op_sel_hi:[1,0,1]
	v_mad_u32_u24 v60, v16, 34, v14
	v_pk_add_f16 v15, v15, v0
	v_pk_add_f16 v0, v8, v6
	v_alignbit_b32 v8, v11, v11, 16
	v_lshlrev_b32_e32 v11, 5, v16
	v_pk_add_f16 v10, v10, v7
	v_add_f16_e32 v1, v59, v1
	v_pk_add_f16 v6, v9, v23
	v_lshl_add_u32 v23, v16, 1, v14
	v_sub_nc_u32_e32 v17, v60, v11
	v_alignbit_b32 v7, v15, v15, 16
	v_alignbit_b32 v9, v10, v10, 16
	;; [unrolled: 1-line block ×3, first 2 shown]
	s_load_dwordx2 s[2:3], s[2:3], 0x0
	ds_write_b16 v60, v1
	ds_write_b128 v60, v[3:6] offset:2
	ds_write_b128 v60, v[7:10] offset:18
	s_waitcnt lgkmcnt(0)
	s_barrier
	buffer_gl0_inv
	ds_read_u16 v30, v23
	ds_read_u16 v11, v17 offset:136
	ds_read_u16 v12, v17 offset:272
	ds_read_u16 v14, v17 offset:408
	ds_read_u16 v15, v17 offset:544
	ds_read_u16 v22, v17 offset:680
	ds_read_u16 v26, v17 offset:816
	ds_read_u16 v28, v17 offset:952
	ds_read_u16 v10, v17 offset:1156
	ds_read_u16 v9, v17 offset:1292
	ds_read_u16 v8, v17 offset:1428
	ds_read_u16 v7, v17 offset:1564
	ds_read_u16 v6, v17 offset:1700
	ds_read_u16 v5, v17 offset:1836
	ds_read_u16 v4, v17 offset:1972
	ds_read_u16 v1, v17 offset:2108
	v_cmp_gt_u32_e64 s0, 34, v16
                                        ; implicit-def: $vgpr3
	s_and_saveexec_b32 s1, s0
	s_cbranch_execz .LBB0_14
; %bb.13:
	ds_read_u16 v0, v17 offset:1088
	ds_read_u16 v3, v17 offset:2244
.LBB0_14:
	s_or_b32 exec_lo, exec_lo, s1
	v_add_f16_sdwa v61, v54, v2 dst_sel:DWORD dst_unused:UNUSED_PAD src0_sel:DWORD src1_sel:WORD_1
	v_sub_f16_e32 v59, v13, v59
	v_add_f16_e32 v54, v54, v31
	v_sub_f16_e32 v25, v25, v58
	v_sub_f16_e32 v46, v46, v47
	v_add_f16_e32 v13, v52, v61
	v_pk_mul_f16 v47, 0xb964b5c8, v59 op_sel_hi:[1,0]
	v_add_f16_e32 v62, v52, v32
	v_add_f16_e32 v52, v51, v34
	v_sub_f16_e32 v27, v27, v57
	v_add_f16_e32 v13, v51, v13
	v_add_f16_e32 v51, v48, v37
	v_sub_f16_e32 v38, v38, v49
	v_add_f16_e32 v49, v42, v41
	v_add_f16_e32 v57, v50, v35
	;; [unrolled: 1-line block ×3, first 2 shown]
	v_sub_f16_e32 v29, v29, v56
	v_sub_f16_e32 v36, v36, v53
	v_add_f16_e32 v50, v44, v40
	v_pk_mul_f16 v53, 0xba62bb29, v27 op_sel_hi:[1,0]
	v_add_f16_e32 v13, v48, v13
	v_pk_mul_f16 v48, 0xbbf7b964, v25 op_sel_hi:[1,0]
	v_sub_f16_e32 v33, v33, v55
	v_pk_mul_f16 v56, 0xb1e1bbf7, v29 op_sel_hi:[1,0]
	v_pk_fma_f16 v68, 0xb8d23722, v52, v53 op_sel_hi:[1,0,1] neg_lo:[0,0,1] neg_hi:[0,0,1]
	v_add_f16_e32 v13, v45, v13
	v_pk_fma_f16 v67, 0x2de839e9, v62, v48 op_sel_hi:[1,0,1] neg_lo:[0,0,1] neg_hi:[0,0,1]
	v_add_f16_e32 v55, v45, v39
	v_pk_mul_f16 v45, 0x3836bbb2, v33 op_sel_hi:[1,0]
	v_pk_mul_f16 v64, 0xb1e1ba62, v25 op_sel_hi:[1,0]
	v_add_f16_e32 v13, v44, v13
	v_pk_mul_f16 v44, 0xbbf7bb29, v59 op_sel_hi:[1,0]
	v_pk_fma_f16 v69, 0xbbdd2de8, v57, v56 op_sel_hi:[1,0,1] neg_lo:[0,0,1] neg_hi:[0,0,1]
	v_pk_mul_f16 v58, 0x3bb2ba62, v36 op_sel_hi:[1,0]
	v_pk_mul_f16 v65, 0x3bb231e1, v27 op_sel_hi:[1,0]
	v_add_f16_e32 v13, v42, v13
	v_pk_fma_f16 v42, 0x39e93b76, v54, v47 op_sel_hi:[1,0,1] neg_lo:[0,0,1] neg_hi:[0,0,1]
	v_pk_fma_f16 v47, 0x39e93b76, v54, v47 op_sel_hi:[1,0,1]
	v_pk_mul_f16 v61, 0x3b29b836, v38 op_sel_hi:[1,0]
	v_pk_mul_f16 v66, 0x35c83bb2, v29 op_sel_hi:[1,0]
	v_add_f16_e32 v13, v41, v13
	v_pk_add_f16 v42, v42, v2 op_sel:[0,1]
	v_pk_add_f16 v47, v47, v2 op_sel:[0,1]
	v_pk_fma_f16 v41, 0xbacdb461, v51, v45 op_sel_hi:[1,0,1] neg_lo:[0,0,1] neg_hi:[0,0,1]
	v_pk_fma_f16 v45, 0xbacdb461, v51, v45 op_sel_hi:[1,0,1]
	v_add_f16_e32 v13, v40, v13
	v_pk_fma_f16 v40, 0x2de839e9, v62, v48 op_sel_hi:[1,0,1]
	v_pk_fma_f16 v48, 0xb8d23722, v52, v53 op_sel_hi:[1,0,1]
	v_pk_add_f16 v42, v67, v42
	v_pk_fma_f16 v70, 0xb461b8d2, v55, v58 op_sel_hi:[1,0,1] neg_lo:[0,0,1] neg_hi:[0,0,1]
	v_add_f16_e32 v13, v39, v13
	v_pk_add_f16 v40, v40, v47
	v_pk_fma_f16 v39, 0xbbdd2de8, v57, v56 op_sel_hi:[1,0,1]
	v_pk_fma_f16 v47, 0x2de83722, v54, v44 op_sel_hi:[1,0,1] neg_lo:[0,0,1] neg_hi:[0,0,1]
	v_pk_add_f16 v42, v68, v42
	v_add_f16_e32 v13, v37, v13
	v_pk_add_f16 v40, v48, v40
	v_pk_fma_f16 v37, 0xb461b8d2, v55, v58 op_sel_hi:[1,0,1]
	v_pk_add_f16 v47, v47, v2 op_sel:[0,1]
	v_pk_add_f16 v42, v69, v42
	v_add_f16_e32 v13, v35, v13
	v_pk_fma_f16 v35, 0xbbddb8d2, v62, v64 op_sel_hi:[1,0,1] neg_lo:[0,0,1] neg_hi:[0,0,1]
	v_pk_add_f16 v39, v39, v40
	v_pk_mul_f16 v63, 0x35c8b1e1, v46 op_sel_hi:[1,0]
	v_pk_add_f16 v40, v41, v42
	v_add_f16_e32 v13, v34, v13
	v_pk_fma_f16 v34, 0xb461bbdd, v52, v65 op_sel_hi:[1,0,1] neg_lo:[0,0,1] neg_hi:[0,0,1]
	v_pk_add_f16 v35, v35, v47
	v_pk_add_f16 v39, v45, v39
	v_pk_fma_f16 v71, 0x3722bacd, v50, v61 op_sel_hi:[1,0,1] neg_lo:[0,0,1] neg_hi:[0,0,1]
	v_add_f16_e32 v13, v32, v13
	v_pk_fma_f16 v32, 0x3722bacd, v50, v61 op_sel_hi:[1,0,1]
	v_pk_add_f16 v34, v34, v35
	v_pk_add_f16 v35, v70, v40
	;; [unrolled: 1-line block ×3, first 2 shown]
	v_add_f16_e32 v39, v31, v13
	v_pk_fma_f16 v13, 0x3b76b461, v57, v66 op_sel_hi:[1,0,1] neg_lo:[0,0,1] neg_hi:[0,0,1]
	v_pk_mul_f16 v40, 0xbb293964, v33 op_sel_hi:[1,0]
	v_pk_add_f16 v31, v71, v35
	v_pk_fma_f16 v35, 0x3b76bbdd, v49, v63 op_sel_hi:[1,0,1] neg_lo:[0,0,1] neg_hi:[0,0,1]
	v_pk_add_f16 v32, v32, v37
	v_pk_add_f16 v13, v13, v34
	v_pk_fma_f16 v34, 0x372239e9, v51, v40 op_sel_hi:[1,0,1] neg_lo:[0,0,1] neg_hi:[0,0,1]
	v_pk_mul_f16 v37, 0xb836b5c8, v36 op_sel_hi:[1,0]
	v_pk_fma_f16 v41, 0x3b76bbdd, v49, v63 op_sel_hi:[1,0,1]
	v_pk_add_f16 v31, v35, v31
	v_pk_fma_f16 v35, 0x2de83722, v54, v44 op_sel_hi:[1,0,1]
	v_pk_add_f16 v34, v34, v13
	v_pk_fma_f16 v42, 0xbacd3b76, v55, v37 op_sel_hi:[1,0,1] neg_lo:[0,0,1] neg_hi:[0,0,1]
	v_pk_add_f16 v13, v41, v32
	v_pk_mul_f16 v32, 0xba62bbb2, v59 op_sel_hi:[1,0]
	v_pk_add_f16 v35, v35, v2 op_sel:[0,1]
	v_pk_fma_f16 v41, 0xbbddb8d2, v62, v64 op_sel_hi:[1,0,1]
	v_pk_add_f16 v34, v42, v34
	v_pk_mul_f16 v42, 0x3a62bbf7, v38 op_sel_hi:[1,0]
	v_pk_fma_f16 v44, 0xb8d2b461, v54, v32 op_sel_hi:[1,0,1] neg_lo:[0,0,1] neg_hi:[0,0,1]
	v_pk_mul_f16 v45, 0x3bb23836, v25 op_sel_hi:[1,0]
	v_pk_add_f16 v35, v41, v35
	v_pk_fma_f16 v41, 0xb461bbdd, v52, v65 op_sel_hi:[1,0,1]
	v_pk_fma_f16 v47, 0xb8d22de8, v50, v42 op_sel_hi:[1,0,1] neg_lo:[0,0,1] neg_hi:[0,0,1]
	v_pk_add_f16 v44, v44, v2 op_sel:[0,1]
	v_pk_fma_f16 v48, 0xb461bacd, v62, v45 op_sel_hi:[1,0,1] neg_lo:[0,0,1] neg_hi:[0,0,1]
	v_pk_mul_f16 v53, 0xb5c83964, v27 op_sel_hi:[1,0]
	v_pk_add_f16 v35, v41, v35
	v_pk_fma_f16 v41, 0x3b76b461, v57, v66 op_sel_hi:[1,0,1]
	v_pk_add_f16 v34, v47, v34
	v_pk_add_f16 v44, v48, v44
	v_pk_fma_f16 v47, 0x3b7639e9, v52, v53 op_sel_hi:[1,0,1] neg_lo:[0,0,1] neg_hi:[0,0,1]
	v_pk_mul_f16 v48, 0xb836bb29, v29 op_sel_hi:[1,0]
	v_pk_add_f16 v35, v41, v35
	v_pk_fma_f16 v40, 0x372239e9, v51, v40 op_sel_hi:[1,0,1]
	v_pk_mul_f16 v56, 0x3bf7b1e1, v33 op_sel_hi:[1,0]
	v_pk_add_f16 v44, v47, v44
	v_pk_fma_f16 v47, 0xbacd3722, v57, v48 op_sel_hi:[1,0,1] neg_lo:[0,0,1] neg_hi:[0,0,1]
	v_pk_mul_f16 v41, 0x3964b836, v46 op_sel_hi:[1,0]
	v_pk_add_f16 v35, v40, v35
	v_pk_fma_f16 v37, 0xbacd3b76, v55, v37 op_sel_hi:[1,0,1]
	v_pk_mul_f16 v58, 0xb9643bf7, v36 op_sel_hi:[1,0]
	v_pk_add_f16 v44, v47, v44
	v_pk_fma_f16 v47, 0x2de8bbdd, v51, v56 op_sel_hi:[1,0,1] neg_lo:[0,0,1] neg_hi:[0,0,1]
	v_pk_fma_f16 v32, 0xb8d2b461, v54, v32 op_sel_hi:[1,0,1]
	v_pk_fma_f16 v40, 0x39e9bacd, v49, v41 op_sel_hi:[1,0,1] neg_lo:[0,0,1] neg_hi:[0,0,1]
	v_pk_add_f16 v35, v37, v35
	v_pk_fma_f16 v37, 0xb8d22de8, v50, v42 op_sel_hi:[1,0,1]
	v_pk_add_f16 v42, v47, v44
	v_pk_fma_f16 v44, 0x39e92de8, v55, v58 op_sel_hi:[1,0,1] neg_lo:[0,0,1] neg_hi:[0,0,1]
	v_pk_add_f16 v61, v32, v2 op_sel:[0,1]
	v_pk_fma_f16 v45, 0xb461bacd, v62, v45 op_sel_hi:[1,0,1]
	v_pk_add_f16 v32, v40, v34
	v_pk_add_f16 v34, v37, v35
	;; [unrolled: 1-line block ×3, first 2 shown]
	v_pk_fma_f16 v42, 0x3b7639e9, v52, v53 op_sel_hi:[1,0,1]
	v_pk_add_f16 v40, v45, v61
	v_pk_mul_f16 v44, 0xb1e1b836, v59 op_sel_hi:[1,0]
	v_pk_mul_f16 v25, 0x35c83b29, v25 op_sel_hi:[1,0]
	;; [unrolled: 1-line block ×4, first 2 shown]
	v_pk_add_f16 v40, v42, v40
	v_pk_fma_f16 v42, 0xbacd3722, v57, v48 op_sel_hi:[1,0,1]
	v_pk_fma_f16 v45, 0xbbddbacd, v54, v44 op_sel_hi:[1,0,1]
	v_pk_fma_f16 v44, 0xbbddbacd, v54, v44 op_sel_hi:[1,0,1] neg_lo:[0,0,1] neg_hi:[0,0,1]
	v_pk_mul_f16 v33, 0xba62b5c8, v33 op_sel_hi:[1,0]
	v_pk_mul_f16 v47, 0xb1e1b5c8, v38 op_sel_hi:[1,0]
	v_pk_add_f16 v40, v42, v40
	v_pk_add_f16 v42, v45, v2 op_sel:[0,1]
	v_pk_fma_f16 v45, 0x3b763722, v62, v25 op_sel_hi:[1,0,1]
	v_pk_add_f16 v2, v44, v2 op_sel:[0,1]
	v_pk_fma_f16 v25, 0x3b763722, v62, v25 op_sel_hi:[1,0,1] neg_lo:[0,0,1] neg_hi:[0,0,1]
	v_pk_fma_f16 v44, 0x2de8bbdd, v51, v56 op_sel_hi:[1,0,1]
	v_pk_mul_f16 v36, 0x3b29b1e1, v36 op_sel_hi:[1,0]
	v_pk_add_f16 v42, v45, v42
	v_pk_fma_f16 v45, 0xbacd2de8, v52, v27 op_sel_hi:[1,0,1]
	v_pk_add_f16 v2, v25, v2
	v_pk_fma_f16 v25, 0xbacd2de8, v52, v27 op_sel_hi:[1,0,1] neg_lo:[0,0,1] neg_hi:[0,0,1]
	v_pk_add_f16 v27, v44, v40
	v_pk_fma_f16 v37, 0xbbdd3b76, v50, v47 op_sel_hi:[1,0,1] neg_lo:[0,0,1] neg_hi:[0,0,1]
	v_pk_add_f16 v40, v45, v42
	v_pk_fma_f16 v42, 0x39e9b8d2, v57, v29 op_sel_hi:[1,0,1]
	v_pk_add_f16 v2, v25, v2
	v_pk_fma_f16 v25, 0x39e9b8d2, v57, v29 op_sel_hi:[1,0,1] neg_lo:[0,0,1] neg_hi:[0,0,1]
	v_pk_fma_f16 v29, 0x39e92de8, v55, v58 op_sel_hi:[1,0,1]
	v_pk_mul_f16 v38, 0xbbb23964, v38 op_sel_hi:[1,0]
	v_pk_add_f16 v40, v42, v40
	v_pk_fma_f16 v42, 0xb8d23b76, v51, v33 op_sel_hi:[1,0,1]
	v_pk_add_f16 v2, v25, v2
	v_pk_fma_f16 v25, 0xb8d23b76, v51, v33 op_sel_hi:[1,0,1] neg_lo:[0,0,1] neg_hi:[0,0,1]
	v_pk_add_f16 v27, v29, v27
	v_pk_fma_f16 v33, 0x3722bbdd, v55, v36 op_sel_hi:[1,0,1]
	v_pk_add_f16 v29, v42, v40
	v_pk_add_f16 v35, v37, v35
	;; [unrolled: 1-line block ×3, first 2 shown]
	v_pk_fma_f16 v25, 0x3722bbdd, v55, v36 op_sel_hi:[1,0,1] neg_lo:[0,0,1] neg_hi:[0,0,1]
	v_pk_mul_f16 v37, 0x3b29ba62, v46 op_sel_hi:[1,0]
	v_pk_fma_f16 v36, 0xbbdd3b76, v50, v47 op_sel_hi:[1,0,1]
	v_pk_add_f16 v29, v33, v29
	v_pk_fma_f16 v33, 0xb46139e9, v50, v38 op_sel_hi:[1,0,1]
	v_pk_mul_f16 v40, 0x3bf7bbb2, v46 op_sel_hi:[1,0]
	v_pk_add_f16 v2, v25, v2
	v_pk_fma_f16 v25, 0xb46139e9, v50, v38 op_sel_hi:[1,0,1] neg_lo:[0,0,1] neg_hi:[0,0,1]
	v_pk_fma_f16 v41, 0x39e9bacd, v49, v41 op_sel_hi:[1,0,1]
	v_pk_add_f16 v27, v36, v27
	v_pk_add_f16 v29, v33, v29
	v_pk_fma_f16 v33, 0x2de8b461, v49, v40 op_sel_hi:[1,0,1]
	v_pk_fma_f16 v36, 0x3722b8d2, v49, v37 op_sel_hi:[1,0,1]
	v_pk_fma_f16 v48, 0x3722b8d2, v49, v37 op_sel_hi:[1,0,1] neg_lo:[0,0,1] neg_hi:[0,0,1]
	v_pk_add_f16 v2, v25, v2
	v_pk_fma_f16 v25, 0x2de8b461, v49, v40 op_sel_hi:[1,0,1] neg_lo:[0,0,1] neg_hi:[0,0,1]
	v_pk_add_f16 v37, v41, v34
	v_pk_add_f16 v29, v33, v29
	;; [unrolled: 1-line block ×5, first 2 shown]
	v_alignbit_b32 v37, v37, v37, 16
	v_alignbit_b32 v35, v29, v29, 16
	;; [unrolled: 1-line block ×4, first 2 shown]
	s_waitcnt lgkmcnt(0)
	s_barrier
	buffer_gl0_inv
	ds_write_b16 v60, v39
	ds_write_b128 v60, v[31:34] offset:2
	ds_write_b128 v60, v[35:38] offset:18
	s_waitcnt lgkmcnt(0)
	s_barrier
	buffer_gl0_inv
	ds_read_u16 v35, v23
	ds_read_u16 v36, v17 offset:136
	ds_read_u16 v37, v17 offset:272
	;; [unrolled: 1-line block ×15, first 2 shown]
                                        ; implicit-def: $vgpr39
	s_and_saveexec_b32 s1, s0
	s_cbranch_execz .LBB0_16
; %bb.15:
	ds_read_u16 v13, v17 offset:1088
	ds_read_u16 v39, v17 offset:2244
.LBB0_16:
	s_or_b32 exec_lo, exec_lo, s1
	v_add_nc_u16 v27, v16, 0x88
	v_add_nc_u32_e32 v29, 0xcc, v16
	v_mov_b32_e32 v52, 0xf0f1
	v_add_nc_u16 v25, v16, 0x44
	v_and_b32_e32 v49, 0xff, v16
	v_and_b32_e32 v51, 0xff, v27
	v_add_nc_u32_e32 v48, 0x110, v16
	v_mul_u32_u24_sdwa v54, v29, v52 dst_sel:DWORD dst_unused:UNUSED_PAD src0_sel:WORD_0 src1_sel:DWORD
	v_and_b32_e32 v50, 0xff, v25
	v_mul_lo_u16 v49, 0xf1, v49
	v_mul_lo_u16 v51, 0xf1, v51
	v_add_nc_u32_e32 v53, 0x154, v16
	v_lshrrev_b32_e32 v54, 20, v54
	v_add_nc_u32_e32 v55, 0x198, v16
	v_mul_lo_u16 v50, 0xf1, v50
	v_lshrrev_b16 v61, 12, v51
	v_lshrrev_b16 v59, 12, v49
	v_mul_lo_u16 v57, v54, 17
	v_add_nc_u32_e32 v49, 0x1dc, v16
	v_mul_u32_u24_sdwa v65, v48, v52 dst_sel:DWORD dst_unused:UNUSED_PAD src0_sel:WORD_0 src1_sel:DWORD
	v_mul_lo_u16 v56, v61, 17
	v_mul_u32_u24_sdwa v66, v53, v52 dst_sel:DWORD dst_unused:UNUSED_PAD src0_sel:WORD_0 src1_sel:DWORD
	v_sub_nc_u16 v64, v29, v57
	v_mul_u32_u24_sdwa v67, v55, v52 dst_sel:DWORD dst_unused:UNUSED_PAD src0_sel:WORD_0 src1_sel:DWORD
	v_lshrrev_b16 v60, 12, v50
	v_sub_nc_u16 v63, v27, v56
	v_add_nc_u32_e32 v27, 0x220, v16
	v_mul_lo_u16 v50, v59, 17
	v_lshrrev_b32_e32 v65, 20, v65
	v_lshrrev_b32_e32 v66, 20, v66
	;; [unrolled: 1-line block ×3, first 2 shown]
	v_mul_u32_u24_sdwa v57, v27, v52 dst_sel:DWORD dst_unused:UNUSED_PAD src0_sel:WORD_0 src1_sel:DWORD
	v_mul_u32_u24_sdwa v52, v49, v52 dst_sel:DWORD dst_unused:UNUSED_PAD src0_sel:WORD_0 src1_sel:DWORD
	v_mul_lo_u16 v51, v60, 17
	v_mov_b32_e32 v58, 2
	v_sub_nc_u16 v62, v16, v50
	v_lshrrev_b32_e32 v68, 20, v57
	v_lshrrev_b32_e32 v70, 20, v52
	v_mul_lo_u16 v57, v65, 17
	v_mul_lo_u16 v67, v66, 17
	;; [unrolled: 1-line block ×4, first 2 shown]
	v_sub_nc_u16 v25, v25, v51
	v_lshlrev_b32_sdwa v29, v58, v62 dst_sel:DWORD dst_unused:UNUSED_PAD src0_sel:DWORD src1_sel:BYTE_0
	v_mul_lo_u16 v72, v70, 17
	v_sub_nc_u16 v73, v48, v57
	v_sub_nc_u16 v52, v27, v52
	v_sub_nc_u16 v74, v53, v67
	v_sub_nc_u16 v55, v55, v71
	v_lshlrev_b32_sdwa v50, v58, v25 dst_sel:DWORD dst_unused:UNUSED_PAD src0_sel:DWORD src1_sel:BYTE_0
	v_sub_nc_u16 v71, v49, v72
	v_and_b32_e32 v72, 0xffff, v52
	global_load_dword v57, v29, s[8:9]
	v_lshlrev_b32_sdwa v51, v58, v63 dst_sel:DWORD dst_unused:UNUSED_PAD src0_sel:DWORD src1_sel:BYTE_0
	v_lshlrev_b32_sdwa v56, v58, v64 dst_sel:DWORD dst_unused:UNUSED_PAD src0_sel:DWORD src1_sel:WORD_0
	v_lshlrev_b32_sdwa v29, v58, v73 dst_sel:DWORD dst_unused:UNUSED_PAD src0_sel:DWORD src1_sel:WORD_0
	;; [unrolled: 1-line block ×5, first 2 shown]
	v_lshlrev_b32_e32 v75, 2, v72
	s_clause 0x7
	global_load_dword v58, v50, s[8:9]
	global_load_dword v50, v51, s[8:9]
	;; [unrolled: 1-line block ×8, first 2 shown]
	v_mov_b32_e32 v67, 1
	v_lshlrev_b32_e32 v29, 1, v43
	v_and_b32_e32 v43, 0xffff, v59
	v_and_b32_e32 v60, 0xffff, v60
	;; [unrolled: 1-line block ×3, first 2 shown]
	v_lshlrev_b32_sdwa v62, v67, v62 dst_sel:DWORD dst_unused:UNUSED_PAD src0_sel:DWORD src1_sel:BYTE_0
	v_mad_u32_u24 v59, 0x44, v54, 0
	v_mad_u32_u24 v43, 0x44, v43, 0
	;; [unrolled: 1-line block ×3, first 2 shown]
	v_mul_lo_u16 v54, v68, 34
	v_mad_u32_u24 v68, 0x44, v60, 0
	v_lshlrev_b32_sdwa v60, v67, v64 dst_sel:DWORD dst_unused:UNUSED_PAD src0_sel:DWORD src1_sel:WORD_0
	v_lshlrev_b32_sdwa v55, v67, v55 dst_sel:DWORD dst_unused:UNUSED_PAD src0_sel:DWORD src1_sel:WORD_0
	v_mad_u32_u24 v65, 0x44, v65, 0
	v_mad_u32_u24 v66, 0x44, v66, 0
	;; [unrolled: 1-line block ×3, first 2 shown]
	v_lshlrev_b32_sdwa v61, v67, v73 dst_sel:DWORD dst_unused:UNUSED_PAD src0_sel:DWORD src1_sel:WORD_0
	v_lshlrev_b32_sdwa v73, v67, v74 dst_sel:DWORD dst_unused:UNUSED_PAD src0_sel:DWORD src1_sel:WORD_0
	v_lshlrev_b32_sdwa v25, v67, v25 dst_sel:DWORD dst_unused:UNUSED_PAD src0_sel:DWORD src1_sel:BYTE_0
	v_add3_u32 v64, v43, v62, v29
	v_lshlrev_b32_sdwa v43, v67, v63 dst_sel:DWORD dst_unused:UNUSED_PAD src0_sel:DWORD src1_sel:BYTE_0
	v_mad_u32_u24 v70, 0x44, v70, 0
	v_lshlrev_b32_sdwa v71, v67, v71 dst_sel:DWORD dst_unused:UNUSED_PAD src0_sel:DWORD src1_sel:WORD_0
	v_add3_u32 v63, v59, v60, v29
	v_add3_u32 v60, v69, v55, v29
	;; [unrolled: 1-line block ×7, first 2 shown]
	v_lshl_add_u32 v55, v72, 1, 0
	s_waitcnt vmcnt(0) lgkmcnt(0)
	s_barrier
	buffer_gl0_inv
	v_mul_f16_sdwa v69, v46, v57 dst_sel:DWORD dst_unused:UNUSED_PAD src0_sel:DWORD src1_sel:WORD_1
	v_mul_f16_sdwa v25, v47, v58 dst_sel:DWORD dst_unused:UNUSED_PAD src0_sel:DWORD src1_sel:WORD_1
	;; [unrolled: 1-line block ×5, first 2 shown]
	v_fmac_f16_e32 v69, v10, v57
	v_mul_f16_sdwa v71, v44, v53 dst_sel:DWORD dst_unused:UNUSED_PAD src0_sel:DWORD src1_sel:WORD_1
	v_mul_f16_sdwa v72, v45, v56 dst_sel:DWORD dst_unused:UNUSED_PAD src0_sel:DWORD src1_sel:WORD_1
	;; [unrolled: 1-line block ×4, first 2 shown]
	v_fmac_f16_e32 v25, v9, v58
	v_fmac_f16_e32 v43, v8, v50
	;; [unrolled: 1-line block ×4, first 2 shown]
	v_sub_f16_e32 v69, v30, v69
	v_fmac_f16_e32 v71, v5, v53
	v_fmac_f16_e32 v72, v4, v56
	;; [unrolled: 1-line block ×4, first 2 shown]
	v_sub_f16_e32 v75, v11, v25
	v_sub_f16_e32 v43, v12, v43
	v_fma_f16 v30, v30, 2.0, -v69
	v_sub_f16_e32 v68, v14, v68
	v_sub_f16_e32 v70, v15, v70
	;; [unrolled: 1-line block ×6, first 2 shown]
	v_fma_f16 v11, v11, 2.0, -v75
	v_fma_f16 v12, v12, 2.0, -v43
	ds_write_b16 v64, v69 offset:34
	v_fma_f16 v14, v14, 2.0, -v68
	v_fma_f16 v15, v15, 2.0, -v70
	;; [unrolled: 1-line block ×5, first 2 shown]
	ds_write_b16 v64, v30
	ds_write_b16 v66, v75 offset:34
	ds_write_b16 v66, v11
	ds_write_b16 v65, v12
	ds_write_b16 v65, v43 offset:34
	ds_write_b16 v63, v14
	ds_write_b16 v63, v68 offset:34
	;; [unrolled: 2-line block ×6, first 2 shown]
	s_and_saveexec_b32 s1, s0
	s_cbranch_execz .LBB0_18
; %bb.17:
	v_lshlrev_b32_sdwa v11, v67, v54 dst_sel:DWORD dst_unused:UNUSED_PAD src0_sel:DWORD src1_sel:WORD_0
	v_fma_f16 v0, v0, 2.0, -v25
	v_add3_u32 v11, v55, v11, v29
	ds_write_b16 v11, v0
	ds_write_b16 v11, v25 offset:34
.LBB0_18:
	s_or_b32 exec_lo, exec_lo, s1
	v_mul_f16_sdwa v8, v8, v50 dst_sel:DWORD dst_unused:UNUSED_PAD src0_sel:DWORD src1_sel:WORD_1
	v_mul_f16_sdwa v6, v6, v52 dst_sel:DWORD dst_unused:UNUSED_PAD src0_sel:DWORD src1_sel:WORD_1
	;; [unrolled: 1-line block ×5, first 2 shown]
	v_fma_f16 v8, v40, v50, -v8
	v_fma_f16 v6, v42, v52, -v6
	;; [unrolled: 1-line block ×3, first 2 shown]
	v_mul_f16_sdwa v7, v7, v51 dst_sel:DWORD dst_unused:UNUSED_PAD src0_sel:DWORD src1_sel:WORD_1
	v_mul_f16_sdwa v5, v5, v53 dst_sel:DWORD dst_unused:UNUSED_PAD src0_sel:DWORD src1_sel:WORD_1
	v_mul_f16_sdwa v4, v4, v56 dst_sel:DWORD dst_unused:UNUSED_PAD src0_sel:DWORD src1_sel:WORD_1
	v_mul_f16_sdwa v3, v3, v49 dst_sel:DWORD dst_unused:UNUSED_PAD src0_sel:DWORD src1_sel:WORD_1
	v_sub_f16_e32 v8, v37, v8
	v_sub_f16_e32 v6, v31, v6
	;; [unrolled: 1-line block ×3, first 2 shown]
	v_lshlrev_b32_e32 v28, 1, v16
	v_fma_f16 v0, v46, v57, -v0
	v_fma_f16 v9, v47, v58, -v9
	;; [unrolled: 1-line block ×6, first 2 shown]
	v_fma_f16 v12, v37, 2.0, -v8
	v_fma_f16 v14, v31, 2.0, -v6
	v_fma_f16 v30, v34, 2.0, -v1
	s_waitcnt lgkmcnt(0)
	s_barrier
	buffer_gl0_inv
	v_add3_u32 v28, 0, v28, v29
	ds_read_u16 v31, v23
	ds_read_u16 v53, v17 offset:136
	ds_read_u16 v52, v17 offset:272
	;; [unrolled: 1-line block ×16, first 2 shown]
	v_sub_f16_e32 v0, v35, v0
	v_sub_f16_e32 v9, v36, v9
	;; [unrolled: 1-line block ×5, first 2 shown]
	v_fma_f16 v10, v35, 2.0, -v0
	v_sub_f16_e32 v26, v13, v3
	v_fma_f16 v11, v36, 2.0, -v9
	v_fma_f16 v2, v2, 2.0, -v7
	;; [unrolled: 1-line block ×4, first 2 shown]
	s_waitcnt lgkmcnt(0)
	s_barrier
	buffer_gl0_inv
	ds_write_b16 v64, v10
	ds_write_b16 v64, v0 offset:34
	ds_write_b16 v66, v11
	ds_write_b16 v66, v9 offset:34
	;; [unrolled: 2-line block ×8, first 2 shown]
	s_and_saveexec_b32 s1, s0
	s_cbranch_execz .LBB0_20
; %bb.19:
	v_mov_b32_e32 v0, 1
	v_fma_f16 v1, v13, 2.0, -v26
	v_lshlrev_b32_sdwa v0, v0, v54 dst_sel:DWORD dst_unused:UNUSED_PAD src0_sel:DWORD src1_sel:WORD_0
	v_add3_u32 v0, v55, v0, v29
	ds_write_b16 v0, v1
	ds_write_b16 v0, v26 offset:34
.LBB0_20:
	s_or_b32 exec_lo, exec_lo, s1
	v_subrev_nc_u32_e32 v22, 34, v16
	v_mov_b32_e32 v1, 0
	s_waitcnt lgkmcnt(0)
	s_barrier
	buffer_gl0_inv
	v_cndmask_b32_e64 v30, v22, v16, s0
	v_lshlrev_b32_e32 v0, 4, v30
	v_lshlrev_b32_e32 v30, 1, v30
	v_lshlrev_b64 v[0:1], 2, v[0:1]
	v_add_co_u32 v12, s1, s8, v0
	v_add_co_ci_u32_e64 v13, s1, s9, v1, s1
	v_cmp_lt_u32_e64 s1, 33, v16
	s_clause 0x3
	global_load_dwordx4 v[0:3], v[12:13], off offset:68
	global_load_dwordx4 v[4:7], v[12:13], off offset:84
	global_load_dwordx4 v[8:11], v[12:13], off offset:100
	global_load_dwordx4 v[12:15], v[12:13], off offset:116
	ds_read_u16 v73, v17 offset:136
	ds_read_u16 v72, v17 offset:272
	;; [unrolled: 1-line block ×16, first 2 shown]
	ds_read_u16 v76, v23
	s_waitcnt vmcnt(0) lgkmcnt(0)
	s_barrier
	buffer_gl0_inv
	v_mul_f16_sdwa v79, v73, v0 dst_sel:DWORD dst_unused:UNUSED_PAD src0_sel:DWORD src1_sel:WORD_1
	v_mul_f16_sdwa v81, v53, v0 dst_sel:DWORD dst_unused:UNUSED_PAD src0_sel:DWORD src1_sel:WORD_1
	v_mul_f16_sdwa v77, v72, v1 dst_sel:DWORD dst_unused:UNUSED_PAD src0_sel:DWORD src1_sel:WORD_1
	v_mul_f16_sdwa v82, v52, v1 dst_sel:DWORD dst_unused:UNUSED_PAD src0_sel:DWORD src1_sel:WORD_1
	v_mul_f16_sdwa v74, v71, v2 dst_sel:DWORD dst_unused:UNUSED_PAD src0_sel:DWORD src1_sel:WORD_1
	v_mul_f16_sdwa v83, v51, v2 dst_sel:DWORD dst_unused:UNUSED_PAD src0_sel:DWORD src1_sel:WORD_1
	v_mul_f16_sdwa v56, v70, v3 dst_sel:DWORD dst_unused:UNUSED_PAD src0_sel:DWORD src1_sel:WORD_1
	v_mul_f16_sdwa v84, v50, v3 dst_sel:DWORD dst_unused:UNUSED_PAD src0_sel:DWORD src1_sel:WORD_1
	v_mul_f16_sdwa v54, v69, v4 dst_sel:DWORD dst_unused:UNUSED_PAD src0_sel:DWORD src1_sel:WORD_1
	v_mul_f16_sdwa v85, v49, v4 dst_sel:DWORD dst_unused:UNUSED_PAD src0_sel:DWORD src1_sel:WORD_1
	v_mul_f16_sdwa v39, v68, v5 dst_sel:DWORD dst_unused:UNUSED_PAD src0_sel:DWORD src1_sel:WORD_1
	v_mul_f16_sdwa v86, v42, v5 dst_sel:DWORD dst_unused:UNUSED_PAD src0_sel:DWORD src1_sel:WORD_1
	v_mul_f16_sdwa v35, v67, v6 dst_sel:DWORD dst_unused:UNUSED_PAD src0_sel:DWORD src1_sel:WORD_1
	v_mul_f16_sdwa v87, v37, v6 dst_sel:DWORD dst_unused:UNUSED_PAD src0_sel:DWORD src1_sel:WORD_1
	v_mul_f16_sdwa v36, v64, v9 dst_sel:DWORD dst_unused:UNUSED_PAD src0_sel:DWORD src1_sel:WORD_1
	v_mul_f16_sdwa v90, v38, v9 dst_sel:DWORD dst_unused:UNUSED_PAD src0_sel:DWORD src1_sel:WORD_1
	v_mul_f16_sdwa v40, v63, v10 dst_sel:DWORD dst_unused:UNUSED_PAD src0_sel:DWORD src1_sel:WORD_1
	v_mul_f16_sdwa v91, v47, v10 dst_sel:DWORD dst_unused:UNUSED_PAD src0_sel:DWORD src1_sel:WORD_1
	v_mul_f16_sdwa v55, v62, v11 dst_sel:DWORD dst_unused:UNUSED_PAD src0_sel:DWORD src1_sel:WORD_1
	v_mul_f16_sdwa v92, v46, v11 dst_sel:DWORD dst_unused:UNUSED_PAD src0_sel:DWORD src1_sel:WORD_1
	v_mul_f16_sdwa v57, v60, v12 dst_sel:DWORD dst_unused:UNUSED_PAD src0_sel:DWORD src1_sel:WORD_1
	v_mul_f16_sdwa v93, v44, v12 dst_sel:DWORD dst_unused:UNUSED_PAD src0_sel:DWORD src1_sel:WORD_1
	v_mul_f16_sdwa v75, v58, v13 dst_sel:DWORD dst_unused:UNUSED_PAD src0_sel:DWORD src1_sel:WORD_1
	v_mul_f16_sdwa v94, v43, v13 dst_sel:DWORD dst_unused:UNUSED_PAD src0_sel:DWORD src1_sel:WORD_1
	v_mul_f16_sdwa v78, v59, v14 dst_sel:DWORD dst_unused:UNUSED_PAD src0_sel:DWORD src1_sel:WORD_1
	v_mul_f16_sdwa v95, v41, v14 dst_sel:DWORD dst_unused:UNUSED_PAD src0_sel:DWORD src1_sel:WORD_1
	v_mul_f16_sdwa v80, v61, v15 dst_sel:DWORD dst_unused:UNUSED_PAD src0_sel:DWORD src1_sel:WORD_1
	v_mul_f16_sdwa v96, v45, v15 dst_sel:DWORD dst_unused:UNUSED_PAD src0_sel:DWORD src1_sel:WORD_1
	v_mul_f16_sdwa v32, v66, v7 dst_sel:DWORD dst_unused:UNUSED_PAD src0_sel:DWORD src1_sel:WORD_1
	v_mul_f16_sdwa v88, v48, v7 dst_sel:DWORD dst_unused:UNUSED_PAD src0_sel:DWORD src1_sel:WORD_1
	v_fmac_f16_e32 v79, v53, v0
	v_fma_f16 v53, v73, v0, -v81
	v_fmac_f16_e32 v77, v52, v1
	v_fma_f16 v52, v72, v1, -v82
	;; [unrolled: 2-line block ×11, first 2 shown]
	v_fmac_f16_e32 v75, v43, v13
	v_fmac_f16_e32 v80, v45, v15
	v_fma_f16 v43, v61, v15, -v96
	v_fmac_f16_e32 v78, v41, v14
	v_fma_f16 v45, v59, v14, -v95
	v_fma_f16 v41, v58, v13, -v94
	v_mul_f16_sdwa v33, v65, v8 dst_sel:DWORD dst_unused:UNUSED_PAD src0_sel:DWORD src1_sel:WORD_1
	v_mul_f16_sdwa v89, v34, v8 dst_sel:DWORD dst_unused:UNUSED_PAD src0_sel:DWORD src1_sel:WORD_1
	v_fmac_f16_e32 v32, v48, v7
	v_fma_f16 v0, v66, v7, -v88
	v_sub_f16_e32 v2, v53, v43
	v_sub_f16_e32 v4, v52, v45
	;; [unrolled: 1-line block ×7, first 2 shown]
	v_add_f16_e32 v15, v31, v79
	v_fmac_f16_e32 v33, v34, v8
	v_fma_f16 v34, v65, v8, -v89
	v_add_f16_e32 v1, v79, v80
	v_add_f16_e32 v3, v77, v78
	v_add_f16_e32 v5, v74, v75
	v_add_f16_e32 v8, v56, v57
	v_add_f16_e32 v10, v54, v55
	v_add_f16_e32 v12, v39, v40
	v_add_f16_e32 v14, v35, v36
	v_mul_f16_e32 v59, 0xb5c8, v2
	v_mul_f16_e32 v60, 0xb964, v2
	;; [unrolled: 1-line block ×56, first 2 shown]
	v_add_f16_e32 v15, v15, v77
	v_fmamk_f16 v121, v1, 0x3b76, v59
	v_fma_f16 v59, v1, 0x3b76, -v59
	v_fmamk_f16 v122, v1, 0x39e9, v60
	v_fma_f16 v60, v1, 0x39e9, -v60
	;; [unrolled: 2-line block ×56, first 2 shown]
	v_add_f16_e32 v14, v15, v74
	v_add_f16_e32 v1, v31, v1
	v_add_f16_e32 v121, v31, v121
	v_add_f16_e32 v59, v31, v59
	v_add_f16_e32 v122, v31, v122
	v_add_f16_e32 v14, v14, v56
	v_add_f16_e32 v1, v3, v1
	v_add_f16_e32 v60, v31, v60
	v_add_f16_e32 v123, v31, v123
	v_add_f16_e32 v61, v31, v61
	v_add_f16_e32 v3, v14, v54
	v_add_f16_e32 v124, v31, v124
	v_add_f16_e32 v62, v31, v62
	v_add_f16_e32 v125, v31, v125
	v_add_f16_e32 v63, v31, v63
	v_add_f16_e32 v3, v3, v39
	v_add_f16_e32 v126, v31, v126
	v_add_f16_e32 v64, v31, v64
	v_add_f16_e32 v127, v31, v127
	v_add_f16_e32 v65, v31, v65
	v_add_f16_e32 v3, v3, v35
	v_add_f16_e32 v128, v31, v128
	v_add_f16_e32 v2, v2, v121
	v_add_f16_e32 v31, v66, v59
	v_add_f16_e32 v59, v129, v122
	v_add_f16_e32 v60, v67, v60
	v_add_f16_e32 v66, v130, v123
	v_add_f16_e32 v61, v68, v61
	v_add_f16_e32 v67, v131, v124
	v_add_f16_e32 v62, v69, v62
	v_add_f16_e32 v68, v132, v125
	v_add_f16_e32 v63, v70, v63
	v_add_f16_e32 v3, v3, v32
	v_add_f16_e32 v64, v71, v64
	v_add_f16_e32 v65, v72, v65
	v_add_f16_e32 v2, v4, v2
	v_add_f16_e32 v4, v73, v31
	v_add_f16_e32 v14, v136, v59
	v_add_f16_e32 v31, v81, v60
	v_add_f16_e32 v59, v137, v66
	v_add_f16_e32 v60, v82, v61
	v_add_f16_e32 v61, v138, v67
	v_add_f16_e32 v62, v83, v62
	v_add_f16_e32 v66, v139, v68
	v_add_f16_e32 v63, v84, v63
	v_add_f16_e32 v3, v3, v33
	v_add_f16_e32 v69, v133, v126
	v_add_f16_e32 v70, v134, v127
	v_add_f16_e32 v64, v85, v64
	v_add_f16_e32 v65, v86, v65
	v_add_f16_e32 v1, v5, v1
	v_add_f16_e32 v2, v6, v2
	v_add_f16_e32 v4, v87, v4
	v_add_f16_e32 v5, v143, v14
	v_add_f16_e32 v6, v88, v31
	v_add_f16_e32 v14, v144, v59
	v_add_f16_e32 v31, v89, v60
	v_add_f16_e32 v59, v145, v61
	v_add_f16_e32 v60, v90, v62
	v_add_f16_e32 v61, v146, v66
	v_add_f16_e32 v62, v91, v63
	v_add_f16_e32 v3, v3, v36
	v_add_f16_e32 v71, v135, v128
	v_sub_f16_e32 v48, v0, v34
	v_add_f16_e32 v67, v140, v69
	v_add_f16_e32 v68, v141, v70
	;; [unrolled: 1-line block ×18, first 2 shown]
	v_mul_f16_e32 v115, 0xb1e1, v48
	v_mul_f16_e32 v116, 0x35c8, v48
	;; [unrolled: 1-line block ×5, first 2 shown]
	v_add_f16_e32 v63, v147, v67
	v_add_f16_e32 v66, v148, v68
	;; [unrolled: 1-line block ×17, first 2 shown]
	v_mul_f16_e32 v120, 0x3b29, v48
	v_fmamk_f16 v15, v58, 0xbbdd, v115
	v_fma_f16 v115, v58, 0xbbdd, -v115
	v_fmamk_f16 v171, v58, 0x3b76, v116
	v_fma_f16 v116, v58, 0x3b76, -v116
	;; [unrolled: 2-line block ×5, first 2 shown]
	v_add_f16_e32 v61, v154, v63
	v_add_f16_e32 v63, v155, v66
	;; [unrolled: 1-line block ×33, first 2 shown]
	v_fma_f16 v12, v58, 0x3722, -v120
	v_mul_f16_e32 v15, 0xbbb2, v48
	v_cndmask_b32_e64 v62, 0, 0x484, s1
	v_add_f16_e32 v63, v163, v65
	v_mul_f16_e32 v48, 0x3bf7, v48
	v_add_f16_e32 v14, v168, v59
	v_add_f16_e32 v59, v169, v61
	;; [unrolled: 1-line block ×4, first 2 shown]
	v_fmamk_f16 v31, v58, 0xb461, v15
	v_add_nc_u32_e32 v62, 0, v62
	v_fmamk_f16 v175, v58, 0x3722, v120
	v_add_f16_e32 v61, v170, v63
	v_fma_f16 v15, v58, 0xb461, -v15
	v_fmamk_f16 v63, v58, 0x2de8, v48
	v_fma_f16 v48, v58, 0x2de8, -v48
	v_add_f16_e32 v3, v3, v80
	v_add_f16_e32 v58, v31, v59
	v_add3_u32 v31, v62, v30, v29
	v_add_f16_e32 v14, v175, v14
	v_add_f16_e32 v15, v15, v60
	;; [unrolled: 1-line block ×4, first 2 shown]
	ds_write_b16 v31, v3
	ds_write_b16 v31, v13 offset:68
	ds_write_b16 v31, v4 offset:136
	;; [unrolled: 1-line block ×16, first 2 shown]
	s_waitcnt lgkmcnt(0)
	s_barrier
	buffer_gl0_inv
	ds_read_u16 v1, v23
	ds_read_u16 v3, v17 offset:136
	ds_read_u16 v4, v17 offset:272
	;; [unrolled: 1-line block ×15, first 2 shown]
	s_and_saveexec_b32 s1, s0
	s_cbranch_execz .LBB0_22
; %bb.21:
	ds_read_u16 v2, v28 offset:1088
	ds_read_u16 v25, v17 offset:2244
.LBB0_22:
	s_or_b32 exec_lo, exec_lo, s1
	v_add_f16_e32 v48, v76, v53
	v_add_f16_e32 v53, v53, v43
	v_sub_f16_e32 v58, v79, v80
	v_add_f16_e32 v59, v52, v45
	v_sub_f16_e32 v60, v77, v78
	v_add_f16_e32 v48, v48, v52
	v_mul_f16_e32 v61, 0x39e9, v53
	v_mul_f16_e32 v62, 0x3722, v53
	;; [unrolled: 1-line block ×4, first 2 shown]
	v_add_f16_e32 v48, v48, v51
	v_mul_f16_e32 v68, 0x2de8, v59
	v_mul_f16_e32 v69, 0xb8d2, v59
	v_fmamk_f16 v73, v58, 0x3964, v61
	v_fmac_f16_e32 v61, 0xb964, v58
	v_add_f16_e32 v48, v48, v50
	v_fmamk_f16 v77, v58, 0x3b29, v62
	v_fmac_f16_e32 v62, 0xbb29, v58
	v_mul_f16_e32 v52, 0x3b76, v53
	v_mul_f16_e32 v65, 0xb8d2, v53
	v_add_f16_e32 v48, v48, v49
	v_mul_f16_e32 v70, 0xbbdd, v59
	v_mul_f16_e32 v71, 0xbacd, v59
	v_fmamk_f16 v78, v58, 0x3bf7, v63
	v_fmac_f16_e32 v63, 0xbbf7, v58
	v_add_f16_e32 v48, v48, v42
	v_fmamk_f16 v79, v58, 0x3bb2, v64
	v_fmac_f16_e32 v64, 0xbbb2, v58
	v_fmamk_f16 v83, v60, 0x3bf7, v68
	v_fmac_f16_e32 v68, 0xbbf7, v60
	v_add_f16_e32 v48, v48, v37
	v_fmamk_f16 v84, v60, 0x3a62, v69
	v_fmac_f16_e32 v69, 0xba62, v60
	v_add_f16_e32 v61, v76, v61
	v_add_f16_e32 v62, v76, v62
	v_add_f16_e32 v48, v48, v0
	v_mul_f16_e32 v66, 0xbacd, v53
	v_mul_f16_e32 v53, 0xbbdd, v53
	;; [unrolled: 1-line block ×3, first 2 shown]
	v_fmamk_f16 v72, v58, 0x35c8, v52
	v_add_f16_e32 v48, v48, v34
	v_fmac_f16_e32 v52, 0xb5c8, v58
	v_fmamk_f16 v80, v58, 0x3a62, v65
	v_fmac_f16_e32 v65, 0xba62, v58
	v_add_f16_e32 v63, v76, v63
	v_add_f16_e32 v48, v48, v38
	;; [unrolled: 1-line block ×5, first 2 shown]
	v_mul_f16_e32 v68, 0xb461, v59
	v_add_f16_e32 v48, v48, v47
	v_fmamk_f16 v69, v60, 0xb836, v71
	v_fmac_f16_e32 v71, 0x3836, v60
	v_fmamk_f16 v81, v58, 0x3836, v66
	v_fmac_f16_e32 v66, 0xb836, v58
	v_add_f16_e32 v48, v48, v46
	v_fmamk_f16 v82, v58, 0x31e1, v53
	v_fmac_f16_e32 v53, 0xb1e1, v58
	v_fmamk_f16 v58, v60, 0x3964, v67
	v_fmac_f16_e32 v67, 0xb964, v60
	v_add_f16_e32 v48, v48, v44
	v_add_f16_e32 v72, v76, v72
	;; [unrolled: 1-line block ×7, first 2 shown]
	v_mul_f16_e32 v71, 0x3722, v59
	v_mul_f16_e32 v59, 0x3b76, v59
	v_add_f16_e32 v41, v51, v41
	v_add_f16_e32 v45, v48, v45
	;; [unrolled: 1-line block ×7, first 2 shown]
	v_fmamk_f16 v45, v60, 0x31e1, v70
	v_fmac_f16_e32 v70, 0xb1e1, v60
	v_add_f16_e32 v48, v67, v52
	v_add_f16_e32 v52, v83, v73
	v_fmamk_f16 v51, v60, 0xbb29, v71
	v_fmac_f16_e32 v71, 0x3b29, v60
	v_add_f16_e32 v63, v70, v63
	v_fmamk_f16 v70, v60, 0xbbb2, v68
	v_fmac_f16_e32 v68, 0x3bb2, v60
	v_sub_f16_e32 v72, v74, v75
	v_mul_f16_e32 v73, 0x3722, v41
	v_add_f16_e32 v77, v76, v77
	v_add_f16_e32 v78, v76, v78
	;; [unrolled: 1-line block ×3, first 2 shown]
	v_fmamk_f16 v68, v60, 0xb5c8, v59
	v_fmac_f16_e32 v59, 0x35c8, v60
	v_add_f16_e32 v60, v71, v66
	v_mul_f16_e32 v71, 0xb8d2, v41
	v_mul_f16_e32 v74, 0xb461, v41
	v_add_f16_e32 v66, v68, v82
	v_fmamk_f16 v68, v72, 0x3b29, v73
	v_add_f16_e32 v53, v59, v53
	v_fmac_f16_e32 v73, 0xbb29, v72
	v_mul_f16_e32 v59, 0xbbdd, v41
	v_add_f16_e32 v79, v76, v79
	v_add_f16_e32 v58, v68, v58
	v_fmamk_f16 v68, v72, 0x3a62, v71
	v_fmac_f16_e32 v71, 0xba62, v72
	v_add_f16_e32 v48, v73, v48
	v_fmamk_f16 v73, v72, 0xb1e1, v59
	v_fmac_f16_e32 v59, 0x31e1, v72
	v_add_f16_e32 v80, v76, v80
	v_add_f16_e32 v67, v84, v77
	;; [unrolled: 1-line block ×5, first 2 shown]
	v_fmamk_f16 v68, v72, 0xbbb2, v74
	v_mul_f16_e32 v71, 0x39e9, v41
	v_fmac_f16_e32 v74, 0x3bb2, v72
	v_add_f16_e32 v59, v59, v62
	v_mul_f16_e32 v62, 0x3b76, v41
	v_add_f16_e32 v81, v76, v81
	v_add_f16_e32 v69, v69, v79
	;; [unrolled: 1-line block ×5, first 2 shown]
	v_fmamk_f16 v68, v72, 0xb964, v71
	v_add_f16_e32 v63, v74, v63
	v_fmamk_f16 v73, v72, 0x35c8, v62
	v_mul_f16_e32 v74, 0x2de8, v41
	v_add_f16_e32 v51, v51, v81
	v_add_f16_e32 v68, v68, v69
	v_fmac_f16_e32 v62, 0xb5c8, v72
	v_add_f16_e32 v69, v73, v70
	v_fmamk_f16 v70, v72, 0x3bf7, v74
	v_mul_f16_e32 v41, 0xbacd, v41
	v_add_f16_e32 v44, v50, v44
	v_add_f16_e32 v62, v62, v65
	v_sub_f16_e32 v56, v56, v57
	v_add_f16_e32 v50, v70, v51
	v_fmamk_f16 v51, v72, 0x3836, v41
	v_mul_f16_e32 v57, 0x2de8, v44
	v_fmac_f16_e32 v41, 0xb836, v72
	v_mul_f16_e32 v65, 0xbbdd, v44
	v_fmac_f16_e32 v71, 0x3964, v72
	v_add_f16_e32 v51, v51, v66
	v_fmamk_f16 v66, v56, 0x3bf7, v57
	v_fmac_f16_e32 v57, 0xbbf7, v56
	v_add_f16_e32 v41, v41, v53
	v_mul_f16_e32 v53, 0xb461, v44
	v_fmamk_f16 v70, v56, 0x31e1, v65
	v_fmac_f16_e32 v65, 0xb1e1, v56
	v_add_f16_e32 v58, v66, v58
	v_add_f16_e32 v48, v57, v48
	v_fmamk_f16 v57, v56, 0xbbb2, v53
	v_mul_f16_e32 v66, 0x3b76, v44
	v_fmac_f16_e32 v53, 0x3bb2, v56
	v_add_f16_e32 v61, v65, v61
	v_mul_f16_e32 v65, 0x3722, v44
	v_add_f16_e32 v64, v71, v64
	v_add_f16_e32 v52, v70, v52
	;; [unrolled: 1-line block ×3, first 2 shown]
	v_fmamk_f16 v67, v56, 0xb5c8, v66
	v_add_f16_e32 v53, v53, v59
	v_fmac_f16_e32 v66, 0x35c8, v56
	v_mul_f16_e32 v59, 0xbacd, v44
	v_fmamk_f16 v70, v56, 0x3b29, v65
	v_fmac_f16_e32 v65, 0xbb29, v56
	v_fmac_f16_e32 v74, 0xbbf7, v72
	v_add_f16_e32 v63, v66, v63
	v_fmamk_f16 v66, v56, 0x3836, v59
	v_fmac_f16_e32 v59, 0xb836, v56
	v_add_f16_e32 v64, v65, v64
	v_mul_f16_e32 v65, 0xb8d2, v44
	v_mul_f16_e32 v44, 0x39e9, v44
	v_add_f16_e32 v46, v49, v46
	v_add_f16_e32 v60, v74, v60
	;; [unrolled: 1-line block ×3, first 2 shown]
	v_fmamk_f16 v49, v56, 0xba62, v65
	v_fmac_f16_e32 v65, 0x3a62, v56
	v_fmamk_f16 v62, v56, 0xb964, v44
	v_sub_f16_e32 v54, v54, v55
	v_mul_f16_e32 v55, 0xb461, v46
	v_fmac_f16_e32 v44, 0x3964, v56
	v_add_f16_e32 v49, v49, v50
	v_add_f16_e32 v50, v65, v60
	v_mul_f16_e32 v60, 0xbacd, v46
	v_fmamk_f16 v56, v54, 0x3bb2, v55
	v_add_f16_e32 v41, v44, v41
	v_fmac_f16_e32 v55, 0xbbb2, v54
	v_mul_f16_e32 v44, 0x39e9, v46
	v_add_f16_e32 v51, v62, v51
	v_add_f16_e32 v56, v56, v58
	v_fmamk_f16 v58, v54, 0xb836, v60
	v_fmac_f16_e32 v60, 0x3836, v54
	v_add_f16_e32 v48, v55, v48
	v_fmamk_f16 v55, v54, 0xb964, v44
	v_mul_f16_e32 v62, 0x3722, v46
	v_add_f16_e32 v45, v67, v45
	v_add_f16_e32 v52, v58, v52
	;; [unrolled: 1-line block ×4, first 2 shown]
	v_fmamk_f16 v57, v54, 0x3b29, v62
	v_mul_f16_e32 v60, 0xbbdd, v46
	v_fmac_f16_e32 v62, 0xbb29, v54
	v_fmac_f16_e32 v44, 0x3964, v54
	v_add_f16_e32 v42, v42, v47
	v_add_f16_e32 v45, v57, v45
	v_fmamk_f16 v57, v54, 0x31e1, v60
	v_add_f16_e32 v61, v62, v63
	v_fmac_f16_e32 v60, 0xb1e1, v54
	v_mul_f16_e32 v63, 0x3b76, v46
	v_add_f16_e32 v44, v44, v53
	v_mul_f16_e32 v53, 0x2de8, v46
	v_mul_f16_e32 v46, 0xb8d2, v46
	v_add_f16_e32 v60, v60, v64
	v_fmamk_f16 v64, v54, 0x35c8, v63
	v_sub_f16_e32 v39, v39, v40
	v_mul_f16_e32 v40, 0xb8d2, v42
	v_fmamk_f16 v62, v54, 0xbbf7, v53
	v_fmac_f16_e32 v53, 0x3bf7, v54
	v_add_f16_e32 v47, v64, v49
	v_fmamk_f16 v49, v54, 0x3a62, v46
	v_fmac_f16_e32 v46, 0xba62, v54
	v_fmac_f16_e32 v63, 0xb5c8, v54
	v_fmamk_f16 v54, v39, 0x3a62, v40
	v_fmac_f16_e32 v40, 0xba62, v39
	v_add_f16_e32 v49, v49, v51
	v_add_f16_e32 v41, v46, v41
	v_mul_f16_e32 v46, 0x3b76, v42
	v_mul_f16_e32 v51, 0xb461, v42
	v_add_f16_e32 v40, v40, v48
	v_add_f16_e32 v67, v70, v68
	;; [unrolled: 1-line block ×3, first 2 shown]
	v_fmamk_f16 v48, v39, 0x35c8, v46
	v_fmamk_f16 v59, v39, 0xbbb2, v51
	v_add_f16_e32 v54, v54, v56
	v_fmac_f16_e32 v51, 0x3bb2, v39
	v_mul_f16_e32 v56, 0xbacd, v42
	v_fmac_f16_e32 v46, 0xb5c8, v39
	v_add_f16_e32 v48, v48, v55
	v_mul_f16_e32 v55, 0x2de8, v42
	v_add_f16_e32 v57, v57, v67
	v_add_f16_e32 v52, v59, v52
	;; [unrolled: 1-line block ×3, first 2 shown]
	v_fmamk_f16 v58, v39, 0x3836, v56
	v_add_f16_e32 v44, v46, v44
	v_mul_f16_e32 v46, 0x39e9, v42
	v_fmamk_f16 v59, v39, 0xbbf7, v55
	v_add_f16_e32 v37, v37, v38
	v_add_f16_e32 v45, v58, v45
	;; [unrolled: 1-line block ×3, first 2 shown]
	v_fmamk_f16 v58, v39, 0x3964, v46
	v_add_f16_e32 v57, v59, v57
	v_fmac_f16_e32 v46, 0xb964, v39
	v_mul_f16_e32 v59, 0xbbdd, v42
	v_mul_f16_e32 v42, 0x3722, v42
	v_sub_f16_e32 v35, v35, v36
	v_mul_f16_e32 v36, 0xbacd, v37
	v_add_f16_e32 v46, v46, v53
	v_fmamk_f16 v38, v39, 0x31e1, v59
	v_fmac_f16_e32 v59, 0xb1e1, v39
	v_fmamk_f16 v53, v39, 0xbb29, v42
	v_fmac_f16_e32 v42, 0x3b29, v39
	v_fmac_f16_e32 v56, 0xb836, v39
	;; [unrolled: 1-line block ×3, first 2 shown]
	v_add_f16_e32 v38, v38, v47
	v_add_f16_e32 v39, v59, v50
	;; [unrolled: 1-line block ×3, first 2 shown]
	v_fmamk_f16 v49, v35, 0x3836, v36
	v_mul_f16_e32 v50, 0x3722, v37
	v_add_f16_e32 v41, v42, v41
	v_fmac_f16_e32 v36, 0xb836, v35
	v_mul_f16_e32 v42, 0x2de8, v37
	v_add_f16_e32 v49, v49, v54
	v_fmamk_f16 v53, v35, 0xbb29, v50
	v_fmac_f16_e32 v50, 0x3b29, v35
	v_add_f16_e32 v36, v36, v40
	v_fmamk_f16 v40, v35, 0x3bf7, v42
	v_mul_f16_e32 v54, 0xb8d2, v37
	v_add_f16_e32 v56, v56, v61
	v_add_f16_e32 v50, v50, v51
	v_mul_f16_e32 v51, 0x3b76, v37
	v_add_f16_e32 v40, v40, v48
	v_fmamk_f16 v48, v35, 0xba62, v54
	v_fmac_f16_e32 v54, 0x3a62, v35
	v_add_f16_e32 v55, v55, v60
	v_add_f16_e32 v52, v53, v52
	v_fmac_f16_e32 v42, 0xbbf7, v35
	v_add_f16_e32 v45, v48, v45
	v_fmamk_f16 v48, v35, 0x35c8, v51
	v_add_f16_e32 v53, v54, v56
	v_fmac_f16_e32 v51, 0xb5c8, v35
	v_mul_f16_e32 v56, 0x39e9, v37
	v_add_f16_e32 v42, v42, v44
	v_mul_f16_e32 v44, 0xbbdd, v37
	v_mul_f16_e32 v37, 0xb461, v37
	v_add_f16_e32 v51, v51, v55
	v_fmamk_f16 v55, v35, 0xb964, v56
	v_add_f16_e32 v0, v0, v34
	v_fmamk_f16 v54, v35, 0x31e1, v44
	v_fmac_f16_e32 v44, 0xb1e1, v35
	v_sub_f16_e32 v33, v32, v33
	v_add_f16_e32 v34, v55, v38
	v_fmamk_f16 v38, v35, 0x3bb2, v37
	v_mul_f16_e32 v32, 0xbbdd, v0
	v_fmac_f16_e32 v37, 0xbbb2, v35
	v_add_f16_e32 v44, v44, v46
	v_fmac_f16_e32 v56, 0x3964, v35
	v_add_f16_e32 v35, v38, v47
	v_fmamk_f16 v46, v33, 0x31e1, v32
	v_fmac_f16_e32 v32, 0xb1e1, v33
	v_add_f16_e32 v37, v37, v41
	v_mul_f16_e32 v41, 0xbacd, v0
	v_mul_f16_e32 v38, 0x3b76, v0
	v_add_f16_e32 v66, v66, v69
	v_add_f16_e32 v32, v32, v36
	;; [unrolled: 1-line block ×3, first 2 shown]
	v_fmamk_f16 v36, v33, 0x3836, v41
	v_fmamk_f16 v47, v33, 0xb5c8, v38
	v_add_f16_e32 v46, v46, v49
	v_fmac_f16_e32 v38, 0x35c8, v33
	v_mul_f16_e32 v49, 0x39e9, v0
	v_add_f16_e32 v36, v36, v40
	v_mul_f16_e32 v40, 0xb8d2, v0
	v_add_f16_e32 v47, v47, v52
	v_fmac_f16_e32 v41, 0xb836, v33
	v_add_f16_e32 v62, v62, v66
	v_add_f16_e32 v38, v38, v50
	v_fmamk_f16 v52, v33, 0x3a62, v40
	v_fmamk_f16 v50, v33, 0xb964, v49
	v_add_f16_e32 v41, v41, v42
	v_fmac_f16_e32 v49, 0x3964, v33
	v_mul_f16_e32 v42, 0x3722, v0
	v_fmac_f16_e32 v40, 0xba62, v33
	v_add_f16_e32 v48, v52, v48
	v_mul_f16_e32 v52, 0xb461, v0
	v_mul_f16_e32 v0, 0x2de8, v0
	v_add_f16_e32 v58, v58, v62
	v_add_f16_e32 v39, v56, v39
	;; [unrolled: 1-line block ×4, first 2 shown]
	v_fmamk_f16 v50, v33, 0xbb29, v42
	v_add_f16_e32 v40, v40, v51
	v_fmac_f16_e32 v42, 0x3b29, v33
	v_fmamk_f16 v51, v33, 0x3bb2, v52
	v_fmac_f16_e32 v52, 0xbbb2, v33
	v_fmamk_f16 v53, v33, 0xbbf7, v0
	v_add_f16_e32 v54, v54, v58
	v_fmac_f16_e32 v0, 0x3bf7, v33
	v_add_f16_e32 v33, v42, v44
	v_add_f16_e32 v34, v51, v34
	;; [unrolled: 1-line block ×6, first 2 shown]
	s_waitcnt lgkmcnt(0)
	s_barrier
	buffer_gl0_inv
	ds_write_b16 v31, v43
	ds_write_b16 v31, v46 offset:68
	ds_write_b16 v31, v47 offset:136
	;; [unrolled: 1-line block ×16, first 2 shown]
	s_waitcnt lgkmcnt(0)
	s_barrier
	buffer_gl0_inv
	ds_read_u16 v23, v23
	ds_read_u16 v31, v17 offset:136
	ds_read_u16 v33, v17 offset:272
	;; [unrolled: 1-line block ×15, first 2 shown]
	s_and_saveexec_b32 s1, s0
	s_cbranch_execz .LBB0_24
; %bb.23:
	ds_read_u16 v32, v28 offset:1088
	ds_read_u16 v26, v17 offset:2244
	v_mov_b32_e32 v22, v27
.LBB0_24:
	s_or_b32 exec_lo, exec_lo, s1
	s_and_saveexec_b32 s0, vcc_lo
	s_cbranch_execz .LBB0_27
; %bb.25:
	v_mov_b32_e32 v17, 0
	v_add_nc_u32_e32 v52, 0x198, v24
	v_add_nc_u32_e32 v53, 0x1dc, v24
	;; [unrolled: 1-line block ×4, first 2 shown]
	v_lshlrev_b64 v[27:28], 2, v[16:17]
	v_add_nc_u32_e32 v51, 0x154, v24
	v_lshlrev_b64 v[18:19], 2, v[18:19]
	v_mul_hi_u32 v56, 0xe2c4a689, v49
	v_mul_hi_u32 v57, 0xe2c4a689, v50
	;; [unrolled: 1-line block ×3, first 2 shown]
	v_add_co_u32 v0, vcc_lo, s8, v27
	v_add_co_ci_u32_e32 v16, vcc_lo, s9, v28, vcc_lo
	v_lshrrev_b32_e32 v56, 9, v56
	v_add_co_u32 v27, vcc_lo, 0x1000, v0
	v_add_co_ci_u32_e32 v28, vcc_lo, 0, v16, vcc_lo
	v_add_co_u32 v47, vcc_lo, 0x800, v0
	v_add_co_ci_u32_e32 v48, vcc_lo, 0, v16, vcc_lo
	s_clause 0x7
	global_load_dword v75, v[27:28], off offset:52
	global_load_dword v76, v[47:48], off offset:1828
	;; [unrolled: 1-line block ×8, first 2 shown]
	v_mul_hi_u32 v28, 0xe2c4a689, v24
	v_add_nc_u32_e32 v47, 0x44, v24
	v_mul_lo_u32 v16, s3, v20
	v_mul_lo_u32 v27, s2, v21
	v_mad_u64_u32 v[20:21], null, s2, v20, 0
	v_mul_hi_u32 v54, 0xe2c4a689, v47
	v_add_nc_u32_e32 v48, 0x88, v24
	v_lshrrev_b32_e32 v28, 9, v28
	v_lshrrev_b32_e32 v59, 9, v57
	;; [unrolled: 1-line block ×3, first 2 shown]
	v_mul_u32_u24_e32 v57, 0x242, v56
	v_add3_u32 v21, v21, v27, v16
	v_mul_hi_u32 v16, 0xe2c4a689, v52
	v_mul_hi_u32 v27, 0xe2c4a689, v53
	v_mul_u32_u24_e32 v28, 0x242, v28
	v_lshrrev_b32_e32 v54, 9, v54
	v_mul_hi_u32 v55, 0xe2c4a689, v48
	v_mul_u32_u24_e32 v58, 0x242, v59
	v_mul_u32_u24_e32 v60, 0x242, v63
	v_sub_nc_u32_e32 v57, v49, v57
	v_lshrrev_b32_e32 v67, 9, v16
	v_lshrrev_b32_e32 v71, 9, v27
	v_sub_nc_u32_e32 v16, v24, v28
	v_mul_u32_u24_e32 v27, 0x242, v54
	v_lshrrev_b32_e32 v55, 9, v55
	v_mul_u32_u24_e32 v61, 0x242, v67
	v_sub_nc_u32_e32 v66, v50, v58
	v_lshlrev_b32_e32 v64, 2, v16
	v_sub_nc_u32_e32 v16, v47, v27
	v_mul_u32_u24_e32 v28, 0x242, v55
	v_mul_u32_u24_e32 v62, 0x242, v71
	v_sub_nc_u32_e32 v68, v51, v60
	v_sub_nc_u32_e32 v69, v52, v61
	v_mad_u32_u24 v16, 0x484, v54, v16
	v_sub_nc_u32_e32 v65, v48, v28
	v_sub_nc_u32_e32 v72, v53, v62
	v_lshlrev_b64 v[20:21], 2, v[20:21]
	v_add_nc_u32_e32 v0, 0x220, v24
	v_lshlrev_b64 v[27:28], 2, v[16:17]
	v_add_nc_u32_e32 v16, 0x242, v16
	v_add_co_u32 v20, s0, s14, v20
	v_lshlrev_b64 v[49:50], 2, v[16:17]
	v_mad_u32_u24 v16, 0x484, v55, v65
	v_add_co_ci_u32_e64 v21, s0, s15, v21, s0
	v_add_co_u32 v18, s0, v20, v18
	v_lshlrev_b64 v[51:52], 2, v[16:17]
	v_add_nc_u32_e32 v16, 0x242, v16
	v_add_co_ci_u32_e64 v19, s0, v21, v19, s0
	v_add_co_u32 v20, s0, v18, v64
	v_lshlrev_b64 v[53:54], 2, v[16:17]
	v_mad_u32_u24 v16, 0x484, v56, v57
	v_add_co_ci_u32_e64 v21, s0, 0, v19, s0
	v_add_co_u32 v47, s0, 0x800, v20
	v_lshlrev_b64 v[55:56], 2, v[16:17]
	v_add_nc_u32_e32 v16, 0x242, v16
	v_add_co_ci_u32_e64 v48, s0, 0, v21, s0
	;; [unrolled: 8-line block ×6, first 2 shown]
	v_add_co_u32 v63, s0, v18, v63
	v_lshlrev_b64 v[73:74], 2, v[16:17]
	v_add_co_ci_u32_e64 v64, s0, v19, v64, s0
	v_add_co_u32 v65, s0, v18, v65
	v_add_co_ci_u32_e64 v66, s0, v19, v66, s0
	v_add_co_u32 v67, s0, v18, v67
	;; [unrolled: 2-line block ×3, first 2 shown]
	v_add_co_ci_u32_e64 v70, s0, v19, v70, s0
	v_cmp_gt_u32_e32 vcc_lo, 0x242, v0
	v_add_co_u32 v71, s0, v18, v71
	v_add_co_ci_u32_e64 v72, s0, v19, v72, s0
	v_add_co_u32 v73, s0, v18, v73
	v_add_co_ci_u32_e64 v74, s0, v19, v74, s0
	s_waitcnt vmcnt(7)
	v_lshrrev_b32_e32 v16, 16, v75
	v_mul_f16_e32 v83, v30, v75
	s_waitcnt vmcnt(6)
	v_lshrrev_b32_e32 v84, 16, v76
	s_waitcnt vmcnt(5)
	v_lshrrev_b32_e32 v86, 16, v77
	;; [unrolled: 2-line block ×6, first 2 shown]
	v_lshrrev_b32_e32 v90, 16, v79
	v_mul_f16_e32 v97, v10, v82
	v_mul_f16_e32 v95, v11, v81
	;; [unrolled: 1-line block ×10, first 2 shown]
	s_waitcnt lgkmcnt(0)
	v_fmac_f16_e32 v83, v46, v16
	v_mul_f16_e32 v16, v30, v16
	v_mul_f16_e32 v29, v29, v84
	;; [unrolled: 1-line block ×5, first 2 shown]
	v_fmac_f16_e32 v97, v39, v96
	v_fma_f16 v10, v39, v82, -v10
	v_fmac_f16_e32 v95, v40, v94
	v_fma_f16 v11, v40, v81, -v11
	;; [unrolled: 2-line block ×3, first 2 shown]
	v_fmac_f16_e32 v85, v45, v84
	v_fmac_f16_e32 v87, v44, v86
	;; [unrolled: 1-line block ×4, first 2 shown]
	v_fma_f16 v16, v46, v75, -v16
	v_fma_f16 v29, v45, v76, -v29
	;; [unrolled: 1-line block ×5, first 2 shown]
	v_sub_f16_e32 v40, v1, v97
	v_sub_f16_e32 v10, v23, v10
	;; [unrolled: 1-line block ×16, first 2 shown]
	v_fma_f16 v1, v1, 2.0, -v40
	v_fma_f16 v23, v23, 2.0, -v10
	;; [unrolled: 1-line block ×16, first 2 shown]
	v_pack_b32_f16 v10, v40, v10
	v_pack_b32_f16 v1, v1, v23
	;; [unrolled: 1-line block ×11, first 2 shown]
	global_store_dword v[47:48], v10, off offset:264
	v_pack_b32_f16 v5, v5, v34
	v_pack_b32_f16 v6, v6, v35
	;; [unrolled: 1-line block ×5, first 2 shown]
	global_store_dword v[20:21], v1, off
	global_store_dword v[27:28], v3, off
	;; [unrolled: 1-line block ×15, first 2 shown]
	s_and_b32 exec_lo, exec_lo, vcc_lo
	s_cbranch_execz .LBB0_27
; %bb.26:
	v_mov_b32_e32 v23, v17
	v_add_nc_u32_e32 v16, 0x462, v24
	v_lshlrev_b64 v[3:4], 2, v[22:23]
	v_add_co_u32 v1, vcc_lo, s8, v3
	v_add_co_ci_u32_e32 v4, vcc_lo, s9, v4, vcc_lo
	v_add_co_u32 v3, vcc_lo, 0x800, v1
	v_add_co_ci_u32_e32 v4, vcc_lo, 0, v4, vcc_lo
	v_mov_b32_e32 v1, v17
	global_load_dword v3, v[3:4], off offset:196
	v_lshlrev_b64 v[0:1], 2, v[0:1]
	s_waitcnt vmcnt(0)
	v_mul_f16_sdwa v5, v26, v3 dst_sel:DWORD dst_unused:UNUSED_PAD src0_sel:DWORD src1_sel:WORD_1
	v_mul_f16_sdwa v4, v25, v3 dst_sel:DWORD dst_unused:UNUSED_PAD src0_sel:DWORD src1_sel:WORD_1
	v_fmac_f16_e32 v5, v25, v3
	v_fma_f16 v6, v26, v3, -v4
	v_lshlrev_b64 v[3:4], 2, v[16:17]
	v_sub_f16_e32 v5, v2, v5
	v_sub_f16_e32 v6, v32, v6
	v_add_co_u32 v3, vcc_lo, v18, v3
	v_fma_f16 v2, v2, 2.0, -v5
	v_fma_f16 v7, v32, 2.0, -v6
	v_add_co_ci_u32_e32 v4, vcc_lo, v19, v4, vcc_lo
	v_add_co_u32 v0, vcc_lo, v18, v0
	v_add_co_ci_u32_e32 v1, vcc_lo, v19, v1, vcc_lo
	v_pack_b32_f16 v2, v2, v7
	v_pack_b32_f16 v5, v5, v6
	global_store_dword v[0:1], v2, off
	global_store_dword v[3:4], v5, off
.LBB0_27:
	s_endpgm
	.section	.rodata,"a",@progbits
	.p2align	6, 0x0
	.amdhsa_kernel fft_rtc_back_len1156_factors_17_2_17_2_wgs_204_tpt_68_halfLds_half_op_CI_CI_unitstride_sbrr_dirReg
		.amdhsa_group_segment_fixed_size 0
		.amdhsa_private_segment_fixed_size 0
		.amdhsa_kernarg_size 104
		.amdhsa_user_sgpr_count 6
		.amdhsa_user_sgpr_private_segment_buffer 1
		.amdhsa_user_sgpr_dispatch_ptr 0
		.amdhsa_user_sgpr_queue_ptr 0
		.amdhsa_user_sgpr_kernarg_segment_ptr 1
		.amdhsa_user_sgpr_dispatch_id 0
		.amdhsa_user_sgpr_flat_scratch_init 0
		.amdhsa_user_sgpr_private_segment_size 0
		.amdhsa_wavefront_size32 1
		.amdhsa_uses_dynamic_stack 0
		.amdhsa_system_sgpr_private_segment_wavefront_offset 0
		.amdhsa_system_sgpr_workgroup_id_x 1
		.amdhsa_system_sgpr_workgroup_id_y 0
		.amdhsa_system_sgpr_workgroup_id_z 0
		.amdhsa_system_sgpr_workgroup_info 0
		.amdhsa_system_vgpr_workitem_id 0
		.amdhsa_next_free_vgpr 176
		.amdhsa_next_free_sgpr 27
		.amdhsa_reserve_vcc 1
		.amdhsa_reserve_flat_scratch 0
		.amdhsa_float_round_mode_32 0
		.amdhsa_float_round_mode_16_64 0
		.amdhsa_float_denorm_mode_32 3
		.amdhsa_float_denorm_mode_16_64 3
		.amdhsa_dx10_clamp 1
		.amdhsa_ieee_mode 1
		.amdhsa_fp16_overflow 0
		.amdhsa_workgroup_processor_mode 1
		.amdhsa_memory_ordered 1
		.amdhsa_forward_progress 0
		.amdhsa_shared_vgpr_count 0
		.amdhsa_exception_fp_ieee_invalid_op 0
		.amdhsa_exception_fp_denorm_src 0
		.amdhsa_exception_fp_ieee_div_zero 0
		.amdhsa_exception_fp_ieee_overflow 0
		.amdhsa_exception_fp_ieee_underflow 0
		.amdhsa_exception_fp_ieee_inexact 0
		.amdhsa_exception_int_div_zero 0
	.end_amdhsa_kernel
	.text
.Lfunc_end0:
	.size	fft_rtc_back_len1156_factors_17_2_17_2_wgs_204_tpt_68_halfLds_half_op_CI_CI_unitstride_sbrr_dirReg, .Lfunc_end0-fft_rtc_back_len1156_factors_17_2_17_2_wgs_204_tpt_68_halfLds_half_op_CI_CI_unitstride_sbrr_dirReg
                                        ; -- End function
	.section	.AMDGPU.csdata,"",@progbits
; Kernel info:
; codeLenInByte = 15504
; NumSgprs: 29
; NumVgprs: 176
; ScratchSize: 0
; MemoryBound: 0
; FloatMode: 240
; IeeeMode: 1
; LDSByteSize: 0 bytes/workgroup (compile time only)
; SGPRBlocks: 3
; VGPRBlocks: 21
; NumSGPRsForWavesPerEU: 29
; NumVGPRsForWavesPerEU: 176
; Occupancy: 5
; WaveLimiterHint : 1
; COMPUTE_PGM_RSRC2:SCRATCH_EN: 0
; COMPUTE_PGM_RSRC2:USER_SGPR: 6
; COMPUTE_PGM_RSRC2:TRAP_HANDLER: 0
; COMPUTE_PGM_RSRC2:TGID_X_EN: 1
; COMPUTE_PGM_RSRC2:TGID_Y_EN: 0
; COMPUTE_PGM_RSRC2:TGID_Z_EN: 0
; COMPUTE_PGM_RSRC2:TIDIG_COMP_CNT: 0
	.text
	.p2alignl 6, 3214868480
	.fill 48, 4, 3214868480
	.type	__hip_cuid_15a7ea87228046ff,@object ; @__hip_cuid_15a7ea87228046ff
	.section	.bss,"aw",@nobits
	.globl	__hip_cuid_15a7ea87228046ff
__hip_cuid_15a7ea87228046ff:
	.byte	0                               ; 0x0
	.size	__hip_cuid_15a7ea87228046ff, 1

	.ident	"AMD clang version 19.0.0git (https://github.com/RadeonOpenCompute/llvm-project roc-6.4.0 25133 c7fe45cf4b819c5991fe208aaa96edf142730f1d)"
	.section	".note.GNU-stack","",@progbits
	.addrsig
	.addrsig_sym __hip_cuid_15a7ea87228046ff
	.amdgpu_metadata
---
amdhsa.kernels:
  - .args:
      - .actual_access:  read_only
        .address_space:  global
        .offset:         0
        .size:           8
        .value_kind:     global_buffer
      - .offset:         8
        .size:           8
        .value_kind:     by_value
      - .actual_access:  read_only
        .address_space:  global
        .offset:         16
        .size:           8
        .value_kind:     global_buffer
      - .actual_access:  read_only
        .address_space:  global
        .offset:         24
        .size:           8
        .value_kind:     global_buffer
      - .actual_access:  read_only
        .address_space:  global
        .offset:         32
        .size:           8
        .value_kind:     global_buffer
      - .offset:         40
        .size:           8
        .value_kind:     by_value
      - .actual_access:  read_only
        .address_space:  global
        .offset:         48
        .size:           8
        .value_kind:     global_buffer
      - .actual_access:  read_only
        .address_space:  global
        .offset:         56
        .size:           8
        .value_kind:     global_buffer
      - .offset:         64
        .size:           4
        .value_kind:     by_value
      - .actual_access:  read_only
        .address_space:  global
        .offset:         72
        .size:           8
        .value_kind:     global_buffer
      - .actual_access:  read_only
        .address_space:  global
        .offset:         80
        .size:           8
        .value_kind:     global_buffer
      - .actual_access:  read_only
        .address_space:  global
        .offset:         88
        .size:           8
        .value_kind:     global_buffer
      - .actual_access:  write_only
        .address_space:  global
        .offset:         96
        .size:           8
        .value_kind:     global_buffer
    .group_segment_fixed_size: 0
    .kernarg_segment_align: 8
    .kernarg_segment_size: 104
    .language:       OpenCL C
    .language_version:
      - 2
      - 0
    .max_flat_workgroup_size: 204
    .name:           fft_rtc_back_len1156_factors_17_2_17_2_wgs_204_tpt_68_halfLds_half_op_CI_CI_unitstride_sbrr_dirReg
    .private_segment_fixed_size: 0
    .sgpr_count:     29
    .sgpr_spill_count: 0
    .symbol:         fft_rtc_back_len1156_factors_17_2_17_2_wgs_204_tpt_68_halfLds_half_op_CI_CI_unitstride_sbrr_dirReg.kd
    .uniform_work_group_size: 1
    .uses_dynamic_stack: false
    .vgpr_count:     176
    .vgpr_spill_count: 0
    .wavefront_size: 32
    .workgroup_processor_mode: 1
amdhsa.target:   amdgcn-amd-amdhsa--gfx1030
amdhsa.version:
  - 1
  - 2
...

	.end_amdgpu_metadata
